;; amdgpu-corpus repo=ROCm/rocFFT kind=compiled arch=gfx1030 opt=O3
	.text
	.amdgcn_target "amdgcn-amd-amdhsa--gfx1030"
	.amdhsa_code_object_version 6
	.protected	bluestein_single_fwd_len924_dim1_half_op_CI_CI ; -- Begin function bluestein_single_fwd_len924_dim1_half_op_CI_CI
	.globl	bluestein_single_fwd_len924_dim1_half_op_CI_CI
	.p2align	8
	.type	bluestein_single_fwd_len924_dim1_half_op_CI_CI,@function
bluestein_single_fwd_len924_dim1_half_op_CI_CI: ; @bluestein_single_fwd_len924_dim1_half_op_CI_CI
; %bb.0:
	s_load_dwordx4 s[8:11], s[4:5], 0x28
	v_mul_u32_u24_e32 v1, 0x5d2, v0
	v_mov_b32_e32 v33, 0
	s_mov_b32 s0, exec_lo
	v_lshrrev_b32_e32 v1, 16, v1
	v_add_nc_u32_e32 v32, s6, v1
	s_waitcnt lgkmcnt(0)
	v_cmpx_gt_u64_e64 s[8:9], v[32:33]
	s_cbranch_execz .LBB0_31
; %bb.1:
	s_clause 0x1
	s_load_dwordx4 s[0:3], s[4:5], 0x18
	s_load_dwordx2 s[6:7], s[4:5], 0x0
	v_mul_lo_u16 v1, v1, 44
	v_sub_nc_u16 v7, v0, v1
	v_and_b32_e32 v83, 0xffff, v7
	v_lshlrev_b32_e32 v65, 2, v83
	s_waitcnt lgkmcnt(0)
	s_load_dwordx4 s[12:15], s[0:1], 0x0
	v_add_co_u32 v30, s0, s6, v65
	v_add_co_ci_u32_e64 v31, null, s7, 0, s0
	global_load_dword v85, v65, s[6:7]
	v_add_nc_u32_e32 v26, 0x600, v65
	s_waitcnt lgkmcnt(0)
	v_mad_u64_u32 v[0:1], null, s14, v32, 0
	v_mad_u64_u32 v[2:3], null, s12, v83, 0
	s_mul_i32 s1, s13, 0x1ce
	s_mul_hi_u32 s9, s12, 0x1ce
	s_mul_i32 s0, s12, 0x1ce
	s_mul_i32 s14, s13, 0xfffffe5e
	s_add_i32 s1, s9, s1
	s_mul_i32 s8, s12, 0xfffffe5e
	v_mad_u64_u32 v[4:5], null, s15, v32, v[1:2]
	v_mad_u64_u32 v[5:6], null, s13, v83, v[3:4]
	v_mov_b32_e32 v1, v4
	s_mul_hi_u32 s13, s12, 0xfffffe5e
	s_sub_i32 s9, s13, s12
	s_lshl_b64 s[12:13], s[0:1], 2
	v_lshlrev_b64 v[0:1], 2, v[0:1]
	v_mov_b32_e32 v3, v5
	s_add_i32 s9, s9, s14
	s_lshl_b64 s[0:1], s[8:9], 2
	v_lshlrev_b64 v[2:3], 2, v[2:3]
	v_add_co_u32 v0, vcc_lo, s10, v0
	v_add_co_ci_u32_e32 v1, vcc_lo, s11, v1, vcc_lo
	v_add_co_u32 v0, vcc_lo, v0, v2
	v_add_co_ci_u32_e32 v1, vcc_lo, v1, v3, vcc_lo
	;; [unrolled: 2-line block ×3, first 2 shown]
	s_clause 0x1
	global_load_dword v4, v[0:1], off
	global_load_dword v5, v[2:3], off
	v_add_co_u32 v0, vcc_lo, v2, s0
	v_add_co_ci_u32_e32 v1, vcc_lo, s1, v3, vcc_lo
	v_add_co_u32 v2, vcc_lo, v0, s12
	v_add_co_ci_u32_e32 v3, vcc_lo, s13, v1, vcc_lo
	s_clause 0x3
	global_load_dword v86, v65, s[6:7] offset:1848
	global_load_dword v82, v65, s[6:7] offset:2024
	;; [unrolled: 1-line block ×4, first 2 shown]
	s_clause 0x1
	global_load_dword v6, v[0:1], off
	global_load_dword v8, v[2:3], off
	v_add_co_u32 v0, vcc_lo, v2, s0
	v_add_co_ci_u32_e32 v1, vcc_lo, s1, v3, vcc_lo
	v_add_co_u32 v28, vcc_lo, 0x800, v30
	v_add_co_ci_u32_e32 v29, vcc_lo, 0, v31, vcc_lo
	v_add_co_u32 v2, vcc_lo, v0, s12
	v_add_co_ci_u32_e32 v3, vcc_lo, s13, v1, vcc_lo
	global_load_dword v9, v[0:1], off
	v_add_co_u32 v0, vcc_lo, v2, s0
	v_add_co_ci_u32_e32 v1, vcc_lo, s1, v3, vcc_lo
	global_load_dword v10, v[2:3], off
	global_load_dword v80, v[28:29], off offset:152
	global_load_dword v11, v[0:1], off
	v_add_co_u32 v0, vcc_lo, v0, s12
	v_add_co_ci_u32_e32 v1, vcc_lo, s13, v1, vcc_lo
	global_load_dword v79, v65, s[6:7] offset:528
	v_add_co_u32 v2, vcc_lo, v0, s0
	v_add_co_ci_u32_e32 v3, vcc_lo, s1, v1, vcc_lo
	global_load_dword v12, v[0:1], off
	s_clause 0x1
	global_load_dword v78, v[28:29], off offset:328
	global_load_dword v77, v65, s[6:7] offset:704
	global_load_dword v13, v[2:3], off
	v_add_co_u32 v0, vcc_lo, v2, s12
	v_add_co_ci_u32_e32 v1, vcc_lo, s13, v3, vcc_lo
	global_load_dword v76, v[28:29], off offset:504
	v_add_co_u32 v2, vcc_lo, v0, s0
	v_add_co_ci_u32_e32 v3, vcc_lo, s1, v1, vcc_lo
	global_load_dword v14, v[0:1], off
	v_add_co_u32 v0, vcc_lo, v2, s12
	v_add_co_ci_u32_e32 v1, vcc_lo, s13, v3, vcc_lo
	global_load_dword v15, v[2:3], off
	s_clause 0x1
	global_load_dword v75, v65, s[6:7] offset:880
	global_load_dword v74, v[28:29], off offset:680
	global_load_dword v16, v[0:1], off
	v_add_co_u32 v0, vcc_lo, v0, s0
	v_add_co_ci_u32_e32 v1, vcc_lo, s1, v1, vcc_lo
	global_load_dword v73, v65, s[6:7] offset:1056
	v_add_co_u32 v2, vcc_lo, v0, s12
	v_add_co_ci_u32_e32 v3, vcc_lo, s13, v1, vcc_lo
	global_load_dword v17, v[0:1], off
	v_add_co_u32 v0, vcc_lo, v2, s0
	v_add_co_ci_u32_e32 v1, vcc_lo, s1, v3, vcc_lo
	s_clause 0x1
	global_load_dword v71, v65, s[6:7] offset:1232
	global_load_dword v69, v65, s[6:7] offset:1408
	global_load_dword v18, v[2:3], off
	global_load_dword v72, v[28:29], off offset:856
	global_load_dword v19, v[0:1], off
	v_add_co_u32 v0, vcc_lo, v0, s12
	v_add_co_ci_u32_e32 v1, vcc_lo, s13, v1, vcc_lo
	global_load_dword v70, v[28:29], off offset:1032
	v_add_co_u32 v2, vcc_lo, v0, s0
	v_add_co_ci_u32_e32 v3, vcc_lo, s1, v1, vcc_lo
	global_load_dword v20, v[0:1], off
	v_add_co_u32 v0, vcc_lo, v2, s12
	v_add_co_ci_u32_e32 v1, vcc_lo, s13, v3, vcc_lo
	global_load_dword v21, v[2:3], off
	;; [unrolled: 3-line block ×3, first 2 shown]
	v_add_co_u32 v0, vcc_lo, v2, s12
	v_add_co_ci_u32_e32 v1, vcc_lo, s13, v3, vcc_lo
	global_load_dword v68, v[28:29], off offset:1208
	global_load_dword v23, v[2:3], off
	global_load_dword v24, v[0:1], off
	s_clause 0x1
	global_load_dword v67, v65, s[6:7] offset:1584
	global_load_dword v66, v[28:29], off offset:1384
	v_add_nc_u32_e32 v2, 0x800, v65
	s_load_dwordx2 s[6:7], s[4:5], 0x38
	s_load_dwordx4 s[8:11], s[2:3], 0x0
	v_add_nc_u32_e32 v3, 0x400, v65
	v_cmp_gt_u16_e32 vcc_lo, 22, v7
	s_waitcnt vmcnt(38)
	v_lshrrev_b32_e32 v25, 16, v4
	v_mul_f16_sdwa v27, v85, v4 dst_sel:DWORD dst_unused:UNUSED_PAD src0_sel:WORD_1 src1_sel:DWORD
	s_waitcnt vmcnt(37)
	v_lshrrev_b32_e32 v34, 16, v5
	v_mul_f16_sdwa v33, v85, v25 dst_sel:DWORD dst_unused:UNUSED_PAD src0_sel:WORD_1 src1_sel:DWORD
	v_fma_f16 v25, v85, v25, -v27
	s_waitcnt vmcnt(36)
	v_mul_f16_sdwa v35, v86, v5 dst_sel:DWORD dst_unused:UNUSED_PAD src0_sel:WORD_1 src1_sel:DWORD
	v_fmac_f16_e32 v33, v85, v4
	v_mul_f16_sdwa v4, v86, v34 dst_sel:DWORD dst_unused:UNUSED_PAD src0_sel:WORD_1 src1_sel:DWORD
	s_waitcnt vmcnt(32)
	v_lshrrev_b32_e32 v27, 16, v6
	v_fma_f16 v34, v86, v34, -v35
	v_mul_f16_sdwa v35, v84, v6 dst_sel:DWORD dst_unused:UNUSED_PAD src0_sel:WORD_1 src1_sel:DWORD
	v_pack_b32_f16 v25, v33, v25
	v_fmac_f16_e32 v4, v86, v5
	v_mul_f16_sdwa v5, v84, v27 dst_sel:DWORD dst_unused:UNUSED_PAD src0_sel:WORD_1 src1_sel:DWORD
	s_waitcnt vmcnt(31)
	v_lshrrev_b32_e32 v33, 16, v8
	v_mul_f16_sdwa v36, v82, v8 dst_sel:DWORD dst_unused:UNUSED_PAD src0_sel:WORD_1 src1_sel:DWORD
	v_fma_f16 v27, v84, v27, -v35
	v_pack_b32_f16 v4, v4, v34
	v_fmac_f16_e32 v5, v84, v6
	v_mul_f16_sdwa v6, v82, v33 dst_sel:DWORD dst_unused:UNUSED_PAD src0_sel:WORD_1 src1_sel:DWORD
	v_fma_f16 v33, v82, v33, -v36
	s_waitcnt vmcnt(30)
	v_lshrrev_b32_e32 v34, 16, v9
	v_mul_f16_sdwa v35, v81, v9 dst_sel:DWORD dst_unused:UNUSED_PAD src0_sel:WORD_1 src1_sel:DWORD
	ds_write_b32 v65, v4 offset:1848
	v_pack_b32_f16 v4, v5, v27
	v_fmac_f16_e32 v6, v82, v8
	v_mul_f16_sdwa v5, v81, v34 dst_sel:DWORD dst_unused:UNUSED_PAD src0_sel:WORD_1 src1_sel:DWORD
	s_waitcnt vmcnt(29)
	v_lshrrev_b32_e32 v27, 16, v10
	v_fma_f16 v8, v81, v34, -v35
	s_waitcnt vmcnt(28)
	v_mul_f16_sdwa v34, v80, v10 dst_sel:DWORD dst_unused:UNUSED_PAD src0_sel:WORD_1 src1_sel:DWORD
	ds_write2_b32 v65, v25, v4 offset1:44
	v_pack_b32_f16 v4, v6, v33
	v_fmac_f16_e32 v5, v81, v9
	v_mul_f16_sdwa v6, v80, v27 dst_sel:DWORD dst_unused:UNUSED_PAD src0_sel:WORD_1 src1_sel:DWORD
	s_waitcnt vmcnt(27)
	v_lshrrev_b32_e32 v9, 16, v11
	v_fma_f16 v25, v80, v27, -v34
	s_waitcnt vmcnt(26)
	v_mul_f16_sdwa v27, v79, v11 dst_sel:DWORD dst_unused:UNUSED_PAD src0_sel:WORD_1 src1_sel:DWORD
	v_pack_b32_f16 v5, v5, v8
	v_fmac_f16_e32 v6, v80, v10
	v_mul_f16_sdwa v8, v79, v9 dst_sel:DWORD dst_unused:UNUSED_PAD src0_sel:WORD_1 src1_sel:DWORD
	s_waitcnt vmcnt(25)
	v_lshrrev_b32_e32 v10, 16, v12
	s_waitcnt vmcnt(24)
	v_mul_f16_sdwa v33, v78, v12 dst_sel:DWORD dst_unused:UNUSED_PAD src0_sel:WORD_1 src1_sel:DWORD
	v_fma_f16 v9, v79, v9, -v27
	v_pack_b32_f16 v6, v6, v25
	v_fmac_f16_e32 v8, v79, v11
	v_mul_f16_sdwa v11, v78, v10 dst_sel:DWORD dst_unused:UNUSED_PAD src0_sel:WORD_1 src1_sel:DWORD
	s_waitcnt vmcnt(22)
	v_lshrrev_b32_e32 v25, 16, v13
	v_fma_f16 v10, v78, v10, -v33
	v_mul_f16_sdwa v27, v77, v13 dst_sel:DWORD dst_unused:UNUSED_PAD src0_sel:WORD_1 src1_sel:DWORD
	ds_write2_b32 v26, v4, v6 offset0:122 offset1:166
	v_pack_b32_f16 v4, v8, v9
	v_fmac_f16_e32 v11, v78, v12
	v_mul_f16_sdwa v6, v77, v25 dst_sel:DWORD dst_unused:UNUSED_PAD src0_sel:WORD_1 src1_sel:DWORD
	s_waitcnt vmcnt(20)
	v_lshrrev_b32_e32 v9, 16, v14
	v_fma_f16 v8, v77, v25, -v27
	v_mul_f16_sdwa v12, v76, v14 dst_sel:DWORD dst_unused:UNUSED_PAD src0_sel:WORD_1 src1_sel:DWORD
	ds_write2_b32 v65, v5, v4 offset0:88 offset1:132
	v_pack_b32_f16 v4, v11, v10
	v_fmac_f16_e32 v6, v77, v13
	v_mul_f16_sdwa v5, v76, v9 dst_sel:DWORD dst_unused:UNUSED_PAD src0_sel:WORD_1 src1_sel:DWORD
	s_waitcnt vmcnt(19)
	v_lshrrev_b32_e32 v10, 16, v15
	v_fma_f16 v9, v76, v9, -v12
	s_waitcnt vmcnt(18)
	v_mul_f16_sdwa v11, v75, v15 dst_sel:DWORD dst_unused:UNUSED_PAD src0_sel:WORD_1 src1_sel:DWORD
	v_pack_b32_f16 v6, v6, v8
	v_fmac_f16_e32 v5, v76, v14
	v_mul_f16_sdwa v8, v75, v10 dst_sel:DWORD dst_unused:UNUSED_PAD src0_sel:WORD_1 src1_sel:DWORD
	s_waitcnt vmcnt(16)
	v_lshrrev_b32_e32 v12, 16, v16
	v_mul_f16_sdwa v13, v74, v16 dst_sel:DWORD dst_unused:UNUSED_PAD src0_sel:WORD_1 src1_sel:DWORD
	v_fma_f16 v10, v75, v10, -v11
	v_pack_b32_f16 v5, v5, v9
	v_fmac_f16_e32 v8, v75, v15
	v_mul_f16_sdwa v9, v74, v12 dst_sel:DWORD dst_unused:UNUSED_PAD src0_sel:WORD_1 src1_sel:DWORD
	v_fma_f16 v11, v74, v12, -v13
	s_waitcnt vmcnt(14)
	v_lshrrev_b32_e32 v12, 16, v17
	v_mul_f16_sdwa v13, v73, v17 dst_sel:DWORD dst_unused:UNUSED_PAD src0_sel:WORD_1 src1_sel:DWORD
	ds_write2_b32 v2, v4, v5 offset0:82 offset1:126
	v_pack_b32_f16 v4, v8, v10
	s_waitcnt vmcnt(11)
	v_lshrrev_b32_e32 v10, 16, v18
	v_fmac_f16_e32 v9, v74, v16
	v_mul_f16_sdwa v5, v73, v12 dst_sel:DWORD dst_unused:UNUSED_PAD src0_sel:WORD_1 src1_sel:DWORD
	v_fma_f16 v8, v73, v12, -v13
	s_waitcnt vmcnt(10)
	v_mul_f16_sdwa v12, v72, v18 dst_sel:DWORD dst_unused:UNUSED_PAD src0_sel:WORD_1 src1_sel:DWORD
	ds_write2_b32 v65, v6, v4 offset0:176 offset1:220
	v_mul_f16_sdwa v6, v72, v10 dst_sel:DWORD dst_unused:UNUSED_PAD src0_sel:WORD_1 src1_sel:DWORD
	v_pack_b32_f16 v4, v9, v11
	v_fmac_f16_e32 v5, v73, v17
	s_waitcnt vmcnt(9)
	v_lshrrev_b32_e32 v9, 16, v19
	v_fma_f16 v10, v72, v10, -v12
	v_fmac_f16_e32 v6, v72, v18
	s_waitcnt vmcnt(7)
	v_lshrrev_b32_e32 v12, 16, v20
	v_mul_f16_sdwa v11, v71, v19 dst_sel:DWORD dst_unused:UNUSED_PAD src0_sel:WORD_1 src1_sel:DWORD
	v_pack_b32_f16 v5, v5, v8
	v_mul_f16_sdwa v8, v71, v9 dst_sel:DWORD dst_unused:UNUSED_PAD src0_sel:WORD_1 src1_sel:DWORD
	v_mul_f16_sdwa v13, v70, v20 dst_sel:DWORD dst_unused:UNUSED_PAD src0_sel:WORD_1 src1_sel:DWORD
	v_pack_b32_f16 v6, v6, v10
	v_mul_f16_sdwa v10, v70, v12 dst_sel:DWORD dst_unused:UNUSED_PAD src0_sel:WORD_1 src1_sel:DWORD
	v_fma_f16 v9, v71, v9, -v11
	v_fmac_f16_e32 v8, v71, v19
	v_fma_f16 v11, v70, v12, -v13
	s_waitcnt vmcnt(6)
	v_lshrrev_b32_e32 v12, 16, v21
	v_mul_f16_sdwa v13, v69, v21 dst_sel:DWORD dst_unused:UNUSED_PAD src0_sel:WORD_1 src1_sel:DWORD
	v_fmac_f16_e32 v10, v70, v20
	ds_write2_b32 v2, v4, v6 offset0:170 offset1:214
	v_pack_b32_f16 v4, v8, v9
	s_waitcnt vmcnt(5)
	v_lshrrev_b32_e32 v9, 16, v22
	v_mul_f16_sdwa v6, v69, v12 dst_sel:DWORD dst_unused:UNUSED_PAD src0_sel:WORD_1 src1_sel:DWORD
	v_fma_f16 v8, v69, v12, -v13
	s_waitcnt vmcnt(4)
	v_mul_f16_sdwa v12, v68, v22 dst_sel:DWORD dst_unused:UNUSED_PAD src0_sel:WORD_1 src1_sel:DWORD
	v_pack_b32_f16 v10, v10, v11
	s_waitcnt vmcnt(3)
	v_lshrrev_b32_e32 v11, 16, v23
	s_waitcnt vmcnt(2)
	v_lshrrev_b32_e32 v13, 16, v24
	v_mul_f16_sdwa v14, v68, v9 dst_sel:DWORD dst_unused:UNUSED_PAD src0_sel:WORD_1 src1_sel:DWORD
	v_fma_f16 v9, v68, v9, -v12
	s_waitcnt vmcnt(1)
	v_mul_f16_sdwa v12, v67, v23 dst_sel:DWORD dst_unused:UNUSED_PAD src0_sel:WORD_1 src1_sel:DWORD
	v_mul_f16_sdwa v15, v67, v11 dst_sel:DWORD dst_unused:UNUSED_PAD src0_sel:WORD_1 src1_sel:DWORD
	s_waitcnt vmcnt(0)
	v_mul_f16_sdwa v16, v66, v13 dst_sel:DWORD dst_unused:UNUSED_PAD src0_sel:WORD_1 src1_sel:DWORD
	v_mul_f16_sdwa v17, v66, v24 dst_sel:DWORD dst_unused:UNUSED_PAD src0_sel:WORD_1 src1_sel:DWORD
	v_fmac_f16_e32 v6, v69, v21
	v_fmac_f16_e32 v14, v68, v22
	v_fma_f16 v11, v67, v11, -v12
	v_fmac_f16_e32 v15, v67, v23
	v_fmac_f16_e32 v16, v66, v24
	v_fma_f16 v12, v66, v13, -v17
	v_pack_b32_f16 v6, v6, v8
	v_pack_b32_f16 v8, v14, v9
	v_add_nc_u32_e32 v14, 0xc00, v65
	v_pack_b32_f16 v9, v15, v11
	v_pack_b32_f16 v11, v16, v12
	ds_write2_b32 v3, v5, v4 offset0:8 offset1:52
	ds_write2_b32 v14, v10, v8 offset0:2 offset1:46
	;; [unrolled: 1-line block ×3, first 2 shown]
	ds_write_b32 v65, v11 offset:3432
	s_and_saveexec_b32 s2, vcc_lo
	s_cbranch_execz .LBB0_3
; %bb.2:
	v_add_co_u32 v0, s0, v0, s0
	v_add_co_ci_u32_e64 v1, s0, s1, v1, s0
	v_add_co_u32 v4, s0, v0, s12
	v_add_co_ci_u32_e64 v5, s0, s13, v1, s0
	global_load_dword v0, v[0:1], off
	global_load_dword v1, v[4:5], off
	s_clause 0x1
	global_load_dword v4, v[30:31], off offset:1760
	global_load_dword v5, v[28:29], off offset:1560
	s_waitcnt vmcnt(3)
	v_lshrrev_b32_e32 v6, 16, v0
	s_waitcnt vmcnt(2)
	v_lshrrev_b32_e32 v7, 16, v1
	s_waitcnt vmcnt(1)
	v_mul_f16_sdwa v8, v4, v0 dst_sel:DWORD dst_unused:UNUSED_PAD src0_sel:WORD_1 src1_sel:DWORD
	s_waitcnt vmcnt(0)
	v_mul_f16_sdwa v11, v5, v1 dst_sel:DWORD dst_unused:UNUSED_PAD src0_sel:WORD_1 src1_sel:DWORD
	v_mul_f16_sdwa v9, v4, v6 dst_sel:DWORD dst_unused:UNUSED_PAD src0_sel:WORD_1 src1_sel:DWORD
	;; [unrolled: 1-line block ×3, first 2 shown]
	v_fma_f16 v6, v4, v6, -v8
	v_fmac_f16_e32 v9, v4, v0
	v_fmac_f16_e32 v10, v5, v1
	v_fma_f16 v0, v5, v7, -v11
	v_pack_b32_f16 v1, v9, v6
	v_pack_b32_f16 v0, v10, v0
	ds_write_b32 v65, v1 offset:1760
	ds_write_b32 v65, v0 offset:3608
.LBB0_3:
	s_or_b32 exec_lo, exec_lo, s2
	v_add_nc_u32_e32 v12, 0xa00, v65
	s_waitcnt lgkmcnt(0)
	s_barrier
	buffer_gl0_inv
	ds_read2_b32 v[10:11], v65 offset1:44
	ds_read2_b32 v[0:1], v3 offset0:206 offset1:250
	ds_read2_b32 v[8:9], v65 offset0:88 offset1:132
	;; [unrolled: 1-line block ×9, first 2 shown]
                                        ; implicit-def: $vgpr20
                                        ; implicit-def: $vgpr21
	s_and_saveexec_b32 s0, vcc_lo
	s_cbranch_execz .LBB0_5
; %bb.4:
	ds_read_b32 v20, v65 offset:1760
	ds_read_b32 v21, v65 offset:3608
.LBB0_5:
	s_or_b32 exec_lo, exec_lo, s0
	s_load_dwordx2 s[2:3], s[4:5], 0x8
	v_add_co_u32 v35, s0, v83, 44
	s_waitcnt lgkmcnt(0)
	v_pk_add_f16 v37, v10, v0 neg_lo:[0,1] neg_hi:[0,1]
	v_pk_add_f16 v39, v11, v1 neg_lo:[0,1] neg_hi:[0,1]
	v_add_co_ci_u32_e64 v22, null, 0, 0, s0
	v_add_co_u32 v22, s0, 0x58, v83
	v_add_co_u32 v26, null, 0x84, v83
	v_add_co_u32 v25, null, 0xb0, v83
	v_pk_add_f16 v16, v8, v16 neg_lo:[0,1] neg_hi:[0,1]
	v_pk_add_f16 v40, v9, v17 neg_lo:[0,1] neg_hi:[0,1]
	;; [unrolled: 1-line block ×3, first 2 shown]
	v_lshlrev_b32_e32 v89, 3, v83
	v_pk_fma_f16 v36, v10, 2.0, v37 op_sel_hi:[1,0,1] neg_lo:[0,0,1] neg_hi:[0,0,1]
	v_lshlrev_b32_e32 v90, 3, v35
	v_pk_fma_f16 v38, v11, 2.0, v39 op_sel_hi:[1,0,1] neg_lo:[0,0,1] neg_hi:[0,0,1]
	v_lshlrev_b32_e32 v27, 1, v83
	v_pk_add_f16 v12, v4, v12 neg_lo:[0,1] neg_hi:[0,1]
	v_add_co_ci_u32_e64 v23, null, 0, 0, s0
	v_add_co_u32 v24, null, 0xdc, v83
	v_add_co_u32 v23, null, 0x108, v83
	v_add_co_u32 v33, null, 0x1b8, v83
	v_pk_add_f16 v19, v7, v19 neg_lo:[0,1] neg_hi:[0,1]
	v_pk_add_f16 v1, v20, v21 neg_lo:[0,1] neg_hi:[0,1]
	;; [unrolled: 1-line block ×3, first 2 shown]
	s_barrier
	buffer_gl0_inv
	ds_write_b64 v89, v[36:37]
	ds_write_b64 v90, v[38:39]
	v_lshlrev_b32_e32 v91, 3, v22
	v_pk_fma_f16 v15, v8, 2.0, v16 op_sel_hi:[1,0,1] neg_lo:[0,0,1] neg_hi:[0,0,1]
	v_lshlrev_b32_e32 v94, 3, v26
	v_pk_fma_f16 v39, v9, 2.0, v40 op_sel_hi:[1,0,1] neg_lo:[0,0,1] neg_hi:[0,0,1]
	;; [unrolled: 2-line block ×3, first 2 shown]
	v_pk_add_f16 v21, v5, v13 neg_lo:[0,1] neg_hi:[0,1]
	v_pk_add_f16 v14, v2, v14 neg_lo:[0,1] neg_hi:[0,1]
	v_pk_fma_f16 v11, v4, 2.0, v12 op_sel_hi:[1,0,1] neg_lo:[0,0,1] neg_hi:[0,0,1]
	v_lshlrev_b32_e32 v4, 2, v27
	v_pk_fma_f16 v0, v20, 2.0, v1 op_sel_hi:[1,0,1] neg_lo:[0,0,1] neg_hi:[0,0,1]
	v_lshlrev_b32_e32 v34, 1, v35
	v_lshlrev_b32_e32 v36, 1, v22
	ds_write_b64 v91, v[15:16]
	v_lshlrev_b32_e32 v37, 1, v26
	ds_write_b64 v94, v[39:40]
	;; [unrolled: 2-line block ×3, first 2 shown]
	v_lshlrev_b32_e32 v39, 1, v24
	v_lshlrev_b32_e32 v92, 3, v24
	v_pk_fma_f16 v18, v7, 2.0, v19 op_sel_hi:[1,0,1] neg_lo:[0,0,1] neg_hi:[0,0,1]
	v_lshlrev_b32_e32 v40, 1, v23
	v_lshlrev_b32_e32 v95, 3, v23
	v_add_nc_u32_e32 v108, 0x268, v27
	v_add_nc_u32_e32 v109, 0x2c0, v27
	;; [unrolled: 1-line block ×3, first 2 shown]
	v_lshlrev_b32_e32 v97, 3, v33
	v_pk_fma_f16 v20, v5, 2.0, v21 op_sel_hi:[1,0,1] neg_lo:[0,0,1] neg_hi:[0,0,1]
	v_pk_fma_f16 v13, v2, 2.0, v14 op_sel_hi:[1,0,1] neg_lo:[0,0,1] neg_hi:[0,0,1]
	v_add_nc_u32_e32 v2, 0x800, v4
	v_pk_fma_f16 v41, v3, 2.0, v42 op_sel_hi:[1,0,1] neg_lo:[0,0,1] neg_hi:[0,0,1]
	ds_write_b64 v92, v[18:19]
	ds_write_b64 v95, v[11:12]
	ds_write2_b64 v2, v[20:21], v[13:14] offset0:52 offset1:96
	ds_write_b64 v4, v[41:42] offset:3168
	s_and_saveexec_b32 s0, vcc_lo
	s_cbranch_execz .LBB0_7
; %bb.6:
	ds_write_b64 v97, v[0:1]
.LBB0_7:
	s_or_b32 exec_lo, exec_lo, s0
	v_add_nc_u32_e32 v9, 0x800, v65
	v_add_nc_u32_e32 v8, 0x400, v65
	;; [unrolled: 1-line block ×4, first 2 shown]
	s_waitcnt lgkmcnt(0)
	s_barrier
	buffer_gl0_inv
	ds_read2_b32 v[4:5], v65 offset1:44
	ds_read2_b32 v[12:13], v8 offset0:206 offset1:250
	ds_read2_b32 v[2:3], v65 offset0:88 offset1:132
	;; [unrolled: 1-line block ×9, first 2 shown]
	s_and_saveexec_b32 s0, vcc_lo
	s_cbranch_execz .LBB0_9
; %bb.8:
	ds_read_b32 v0, v65 offset:1760
	ds_read_b32 v1, v65 offset:3608
.LBB0_9:
	s_or_b32 exec_lo, exec_lo, s0
	v_and_b32_e32 v87, 1, v83
	s_waitcnt lgkmcnt(8)
	v_lshrrev_b32_e32 v43, 16, v12
	v_lshlrev_b32_e32 v93, 1, v33
	v_lshrrev_b32_e32 v45, 16, v13
	s_waitcnt lgkmcnt(6)
	v_lshrrev_b32_e32 v47, 16, v14
	v_lshlrev_b32_e32 v41, 2, v87
	v_and_or_b32 v27, 0x7c, v27, v87
	v_and_or_b32 v33, 0xfc, v34, v87
	;; [unrolled: 1-line block ×4, first 2 shown]
	global_load_dword v88, v41, s[2:3]
	v_and_or_b32 v37, 0x1fc, v38, v87
	v_and_or_b32 v38, 0x3fc, v39, v87
	v_lshrrev_b32_e32 v49, 16, v15
	v_and_or_b32 v39, 0x2fc, v40, v87
	v_and_or_b32 v40, 0x2fc, v108, v87
	s_waitcnt lgkmcnt(4)
	v_lshrrev_b32_e32 v51, 16, v20
	v_and_or_b32 v63, 0x3fc, v109, v87
	v_and_or_b32 v64, 0x3fc, v110, v87
	v_lshrrev_b32_e32 v53, 16, v21
	s_waitcnt lgkmcnt(2)
	v_lshrrev_b32_e32 v55, 16, v18
	v_lshrrev_b32_e32 v57, 16, v19
	s_waitcnt lgkmcnt(0)
	v_lshrrev_b32_e32 v59, 16, v16
	v_lshrrev_b32_e32 v61, 16, v17
	;; [unrolled: 1-line block ×3, first 2 shown]
	v_lshlrev_b32_e32 v103, 2, v27
	v_lshlrev_b32_e32 v104, 2, v33
	;; [unrolled: 1-line block ×10, first 2 shown]
	v_lshrrev_b32_e32 v42, 16, v4
	v_lshrrev_b32_e32 v44, 16, v5
	;; [unrolled: 1-line block ×11, first 2 shown]
	s_waitcnt vmcnt(0)
	s_barrier
	buffer_gl0_inv
	v_mul_f16_sdwa v27, v43, v88 dst_sel:DWORD dst_unused:UNUSED_PAD src0_sel:DWORD src1_sel:WORD_1
	v_mul_f16_sdwa v33, v12, v88 dst_sel:DWORD dst_unused:UNUSED_PAD src0_sel:DWORD src1_sel:WORD_1
	;; [unrolled: 1-line block ×21, first 2 shown]
	v_fma_f16 v12, v12, v88, -v27
	v_fmac_f16_e32 v33, v43, v88
	v_fma_f16 v13, v13, v88, -v34
	v_fmac_f16_e32 v36, v45, v88
	;; [unrolled: 2-line block ×5, first 2 shown]
	v_mul_f16_sdwa v122, v1, v88 dst_sel:DWORD dst_unused:UNUSED_PAD src0_sel:DWORD src1_sel:WORD_1
	v_fma_f16 v21, v21, v88, -v111
	v_fmac_f16_e32 v112, v53, v88
	v_fma_f16 v18, v18, v88, -v113
	v_fmac_f16_e32 v114, v55, v88
	;; [unrolled: 2-line block ×5, first 2 shown]
	v_fma_f16 v1, v1, v88, -v121
	v_sub_f16_e32 v12, v4, v12
	v_sub_f16_e32 v27, v42, v33
	;; [unrolled: 1-line block ×10, first 2 shown]
	v_fmac_f16_e32 v122, v62, v88
	v_sub_f16_e32 v21, v7, v21
	v_sub_f16_e32 v38, v52, v112
	;; [unrolled: 1-line block ×11, first 2 shown]
	v_fma_f16 v1, v4, 2.0, -v12
	v_fma_f16 v4, v42, 2.0, -v27
	;; [unrolled: 1-line block ×10, first 2 shown]
	v_sub_f16_e32 v124, v41, v122
	v_fma_f16 v7, v7, 2.0, -v21
	v_fma_f16 v48, v52, 2.0, -v38
	;; [unrolled: 1-line block ×10, first 2 shown]
	v_pack_b32_f16 v12, v12, v27
	v_pack_b32_f16 v1, v1, v4
	;; [unrolled: 1-line block ×20, first 2 shown]
	ds_write2_b32 v103, v1, v12 offset1:2
	ds_write2_b32 v104, v4, v13 offset1:2
	;; [unrolled: 1-line block ×10, first 2 shown]
	s_and_saveexec_b32 s0, vcc_lo
	s_cbranch_execz .LBB0_11
; %bb.10:
	v_fma_f16 v0, v0, 2.0, -v123
	v_and_or_b32 v1, 0x3fc, v93, v87
	v_fma_f16 v2, v41, 2.0, -v124
	v_lshlrev_b32_e32 v1, 2, v1
	v_pack_b32_f16 v0, v0, v2
	v_perm_b32 v2, v124, v123, 0x5040100
	ds_write2_b32 v1, v0, v2 offset1:2
.LBB0_11:
	s_or_b32 exec_lo, exec_lo, s0
	v_and_b32_e32 v7, 3, v83
	s_waitcnt lgkmcnt(0)
	s_barrier
	buffer_gl0_inv
	v_add_nc_u32_e32 v122, 0x400, v65
	v_lshlrev_b32_e32 v0, 3, v7
	v_add_nc_u32_e32 v121, 0x800, v65
	ds_read2_b32 v[4:5], v65 offset1:44
	v_add_nc_u32_e32 v6, 0xc00, v65
	v_lshrrev_b32_e32 v37, 2, v26
	global_load_dwordx2 v[33:34], v0, s[2:3] offset:8
	ds_read2_b32 v[2:3], v65 offset0:88 offset1:132
	ds_read2_b32 v[0:1], v65 offset0:176 offset1:220
	ds_read_b32 v27, v65 offset:3520
	v_lshrrev_b32_e32 v38, 2, v25
	ds_read2_b32 v[8:9], v122 offset0:8 offset1:52
	ds_read2_b32 v[10:11], v121 offset0:104 offset1:148
	;; [unrolled: 1-line block ×7, first 2 shown]
	v_lshrrev_b32_e32 v24, 2, v24
	v_lshrrev_b32_e32 v23, 2, v23
	v_lshrrev_b32_e32 v20, 2, v83
	v_lshrrev_b32_e32 v21, 2, v35
	v_lshrrev_b32_e32 v36, 2, v22
	v_and_b32_e32 v39, 0xff, v83
	v_and_b32_e32 v40, 0xff, v35
	;; [unrolled: 1-line block ×3, first 2 shown]
	v_mul_u32_u24_e32 v38, 12, v38
	v_mul_u32_u24_e32 v24, 12, v24
	;; [unrolled: 1-line block ×5, first 2 shown]
	s_waitcnt lgkmcnt(6)
	v_lshrrev_b32_e32 v45, 16, v9
	s_waitcnt lgkmcnt(5)
	v_lshrrev_b32_e32 v46, 16, v10
	;; [unrolled: 2-line block ×3, first 2 shown]
	v_lshrrev_b32_e32 v48, 16, v11
	v_lshrrev_b32_e32 v49, 16, v13
	s_waitcnt lgkmcnt(3)
	v_lshrrev_b32_e32 v50, 16, v14
	v_lshrrev_b32_e32 v44, 16, v27
	s_waitcnt lgkmcnt(2)
	v_lshrrev_b32_e32 v51, 16, v16
	v_lshrrev_b32_e32 v52, 16, v15
	;; [unrolled: 1-line block ×3, first 2 shown]
	s_waitcnt lgkmcnt(1)
	v_lshrrev_b32_e32 v54, 16, v18
	s_waitcnt lgkmcnt(0)
	v_lshrrev_b32_e32 v55, 16, v25
	v_lshrrev_b32_e32 v56, 16, v19
	;; [unrolled: 1-line block ×3, first 2 shown]
	v_mul_u32_u24_e32 v36, 12, v36
	v_mul_u32_u24_e32 v37, 12, v37
	v_mul_lo_u16 v39, 0xab, v39
	v_mul_lo_u16 v40, 0xab, v40
	v_mul_lo_u16 v41, 0xab, v41
	v_or_b32_e32 v38, v38, v7
	v_or_b32_e32 v42, v24, v7
	;; [unrolled: 1-line block ×7, first 2 shown]
	v_lshrrev_b16 v24, 11, v39
	v_lshrrev_b16 v23, 11, v40
	v_lshrrev_b16 v7, 11, v41
	v_lshlrev_b32_e32 v113, 2, v38
	v_lshlrev_b32_e32 v112, 2, v42
	;; [unrolled: 1-line block ×3, first 2 shown]
	v_lshrrev_b32_e32 v38, 16, v4
	v_lshrrev_b32_e32 v39, 16, v5
	;; [unrolled: 1-line block ×7, first 2 shown]
	v_lshlrev_b32_e32 v117, 2, v20
	v_lshlrev_b32_e32 v116, 2, v21
	v_mul_lo_u16 v20, v24, 12
	v_mul_lo_u16 v21, v23, 12
	v_lshlrev_b32_e32 v115, 2, v36
	s_waitcnt vmcnt(0)
	s_barrier
	v_sub_nc_u16 v20, v83, v20
	v_sub_nc_u16 v21, v35, v21
	buffer_gl0_inv
	v_lshlrev_b32_e32 v114, 2, v37
	v_cmp_gt_u16_e64 s0, 40, v83
	v_and_b32_e32 v20, 0xff, v20
	v_and_b32_e32 v21, 0xff, v21
	v_mad_u64_u32 v[36:37], null, v20, 24, s[2:3]
	v_mul_f16_sdwa v59, v45, v33 dst_sel:DWORD dst_unused:UNUSED_PAD src0_sel:DWORD src1_sel:WORD_1
	v_mul_f16_sdwa v60, v9, v33 dst_sel:DWORD dst_unused:UNUSED_PAD src0_sel:DWORD src1_sel:WORD_1
	;; [unrolled: 1-line block ×28, first 2 shown]
	v_fma_f16 v9, v9, v33, -v59
	v_fmac_f16_e32 v60, v45, v33
	v_fma_f16 v10, v10, v34, -v61
	v_fmac_f16_e32 v62, v46, v34
	;; [unrolled: 2-line block ×14, first 2 shown]
	v_add_f16_e32 v45, v9, v10
	v_add_f16_e32 v48, v60, v62
	;; [unrolled: 1-line block ×7, first 2 shown]
	v_sub_f16_e32 v46, v60, v62
	v_add_f16_e32 v47, v38, v60
	v_sub_f16_e32 v9, v9, v10
	v_sub_f16_e32 v51, v64, v119
	v_add_f16_e32 v52, v39, v64
	v_sub_f16_e32 v56, v125, v127
	v_add_f16_e32 v58, v40, v125
	v_add_f16_e32 v61, v16, v15
	v_sub_f16_e32 v63, v129, v131
	v_add_f16_e32 v64, v41, v129
	v_add_f16_e32 v118, v129, v131
	v_add_f16_e32 v125, v17, v18
	v_sub_f16_e32 v126, v133, v135
	v_add_f16_e32 v128, v42, v133
	;; [unrolled: 4-line block ×3, first 2 shown]
	v_add_f16_e32 v136, v137, v139
	v_add_f16_e32 v137, v8, v26
	;; [unrolled: 1-line block ×3, first 2 shown]
	v_sub_f16_e32 v140, v141, v143
	v_add_f16_e32 v142, v57, v141
	v_add_f16_e32 v141, v141, v143
	v_fma_f16 v4, -0.5, v45, v4
	v_fmac_f16_e32 v38, -0.5, v48
	v_add_f16_e32 v49, v5, v12
	v_sub_f16_e32 v12, v12, v11
	v_fmac_f16_e32 v5, -0.5, v50
	v_fmac_f16_e32 v39, -0.5, v53
	v_add_f16_e32 v54, v2, v13
	v_sub_f16_e32 v13, v13, v14
	v_fma_f16 v2, -0.5, v55, v2
	v_fmac_f16_e32 v40, -0.5, v59
	v_add_f16_e32 v60, v3, v16
	v_sub_f16_e32 v16, v16, v15
	v_add_f16_e32 v120, v0, v17
	v_sub_f16_e32 v17, v17, v18
	v_add_f16_e32 v130, v1, v25
	v_sub_f16_e32 v25, v25, v19
	v_sub_f16_e32 v26, v26, v27
	v_add_f16_e32 v10, v44, v10
	v_add_f16_e32 v44, v47, v62
	;; [unrolled: 1-line block ×3, first 2 shown]
	v_fmac_f16_e32 v3, -0.5, v61
	v_fmac_f16_e32 v41, -0.5, v118
	v_fma_f16 v0, -0.5, v125, v0
	v_fmac_f16_e32 v42, -0.5, v129
	v_fmac_f16_e32 v1, -0.5, v132
	;; [unrolled: 1-line block ×3, first 2 shown]
	v_add_f16_e32 v27, v137, v27
	v_fmac_f16_e32 v8, -0.5, v138
	v_add_f16_e32 v52, v142, v143
	v_fmac_f16_e32 v57, -0.5, v141
	v_fmamk_f16 v53, v46, 0x3aee, v4
	v_fmac_f16_e32 v4, 0xbaee, v46
	v_fmamk_f16 v46, v9, 0xbaee, v38
	v_fmac_f16_e32 v38, 0x3aee, v9
	v_add_f16_e32 v11, v49, v11
	v_fmamk_f16 v9, v51, 0x3aee, v5
	v_fmac_f16_e32 v5, 0xbaee, v51
	v_fmamk_f16 v51, v12, 0xbaee, v39
	v_fmac_f16_e32 v39, 0x3aee, v12
	v_add_f16_e32 v14, v54, v14
	v_add_f16_e32 v47, v58, v127
	v_fmamk_f16 v12, v56, 0x3aee, v2
	v_fmac_f16_e32 v2, 0xbaee, v56
	v_fmamk_f16 v54, v13, 0xbaee, v40
	v_fmac_f16_e32 v40, 0x3aee, v13
	v_add_f16_e32 v15, v60, v15
	v_add_f16_e32 v48, v64, v131
	;; [unrolled: 1-line block ×6, first 2 shown]
	v_fmamk_f16 v13, v63, 0x3aee, v3
	v_fmac_f16_e32 v3, 0xbaee, v63
	v_fmamk_f16 v55, v16, 0xbaee, v41
	v_fmac_f16_e32 v41, 0x3aee, v16
	;; [unrolled: 2-line block ×8, first 2 shown]
	v_pack_b32_f16 v10, v10, v44
	v_pack_b32_f16 v26, v27, v52
	;; [unrolled: 1-line block ×21, first 2 shown]
	ds_write2_b32 v117, v10, v27 offset1:4
	ds_write_b32 v117, v4 offset:32
	ds_write2_b32 v116, v11, v9 offset1:4
	ds_write_b32 v116, v5 offset:32
	;; [unrolled: 2-line block ×7, first 2 shown]
	v_mul_lo_u16 v2, v7, 12
	v_mad_u64_u32 v[0:1], null, v21, 24, s[2:3]
	s_waitcnt lgkmcnt(0)
	s_barrier
	v_sub_nc_u16 v2, v22, v2
	buffer_gl0_inv
	s_clause 0x2
	global_load_dwordx4 v[16:19], v[36:37], off offset:40
	global_load_dwordx2 v[41:42], v[36:37], off offset:56
	global_load_dwordx4 v[12:15], v[0:1], off offset:40
	v_and_b32_e32 v36, 0xff, v2
	v_mov_b32_e32 v47, 0x54
	v_add_nc_u32_e32 v126, 0x600, v65
	v_mad_u64_u32 v[2:3], null, v36, 24, s[2:3]
	s_clause 0x2
	global_load_dwordx2 v[39:40], v[0:1], off offset:56
	global_load_dwordx4 v[8:11], v[2:3], off offset:40
	global_load_dwordx2 v[37:38], v[2:3], off offset:56
	v_mul_u32_u24_sdwa v48, v24, v47 dst_sel:DWORD dst_unused:UNUSED_PAD src0_sel:WORD_0 src1_sel:DWORD
	v_mul_u32_u24_sdwa v49, v23, v47 dst_sel:DWORD dst_unused:UNUSED_PAD src0_sel:WORD_0 src1_sel:DWORD
	;; [unrolled: 1-line block ×3, first 2 shown]
	ds_read2_b32 v[0:1], v65 offset0:88 offset1:132
	ds_read2_b32 v[2:3], v122 offset0:8 offset1:52
	;; [unrolled: 1-line block ×9, first 2 shown]
	v_add_lshl_u32 v120, v48, v20, 2
	v_add_lshl_u32 v119, v49, v21, 2
	;; [unrolled: 1-line block ×3, first 2 shown]
	ds_read2_b32 v[20:21], v65 offset1:44
	ds_read_b32 v36, v65 offset:3520
	s_waitcnt vmcnt(0) lgkmcnt(0)
	s_barrier
	buffer_gl0_inv
	v_lshrrev_b32_e32 v47, 16, v1
	v_lshrrev_b32_e32 v48, 16, v2
	;; [unrolled: 1-line block ×18, first 2 shown]
	v_mul_f16_sdwa v125, v47, v16 dst_sel:DWORD dst_unused:UNUSED_PAD src0_sel:DWORD src1_sel:WORD_1
	v_mul_f16_sdwa v127, v1, v16 dst_sel:DWORD dst_unused:UNUSED_PAD src0_sel:DWORD src1_sel:WORD_1
	;; [unrolled: 1-line block ×36, first 2 shown]
	v_fma_f16 v1, v1, v16, -v125
	v_fmac_f16_e32 v127, v47, v16
	v_fma_f16 v2, v2, v17, -v128
	v_fmac_f16_e32 v129, v48, v17
	;; [unrolled: 2-line block ×18, first 2 shown]
	v_add_f16_e32 v47, v1, v43
	v_add_f16_e32 v48, v127, v137
	;; [unrolled: 1-line block ×4, first 2 shown]
	v_sub_f16_e32 v1, v1, v43
	v_sub_f16_e32 v43, v127, v137
	;; [unrolled: 1-line block ×4, first 2 shown]
	v_add_f16_e32 v51, v5, v24
	v_add_f16_e32 v52, v131, v133
	v_sub_f16_e32 v5, v24, v5
	v_sub_f16_e32 v24, v133, v131
	v_add_f16_e32 v53, v45, v44
	v_add_f16_e32 v54, v139, v149
	v_sub_f16_e32 v44, v45, v44
	v_sub_f16_e32 v45, v139, v149
	;; [unrolled: 4-line block ×3, first 2 shown]
	v_add_f16_e32 v57, v22, v25
	v_sub_f16_e32 v22, v25, v22
	v_sub_f16_e32 v25, v145, v143
	v_add_f16_e32 v59, v46, v36
	v_add_f16_e32 v60, v151, v161
	;; [unrolled: 1-line block ×4, first 2 shown]
	v_sub_f16_e32 v36, v46, v36
	v_sub_f16_e32 v46, v151, v161
	;; [unrolled: 1-line block ×4, first 2 shown]
	v_add_f16_e32 v63, v23, v26
	v_sub_f16_e32 v23, v26, v23
	v_sub_f16_e32 v26, v157, v155
	v_add_f16_e32 v125, v49, v47
	v_add_f16_e32 v127, v50, v48
	;; [unrolled: 1-line block ×4, first 2 shown]
	v_sub_f16_e32 v128, v49, v47
	v_sub_f16_e32 v129, v50, v48
	;; [unrolled: 1-line block ×6, first 2 shown]
	v_add_f16_e32 v130, v5, v2
	v_add_f16_e32 v131, v24, v27
	v_sub_f16_e32 v132, v5, v2
	v_sub_f16_e32 v133, v24, v27
	;; [unrolled: 1-line block ×4, first 2 shown]
	v_add_f16_e32 v134, v55, v53
	v_add_f16_e32 v135, v56, v54
	v_sub_f16_e32 v136, v55, v53
	v_sub_f16_e32 v55, v57, v55
	v_add_f16_e32 v138, v22, v3
	v_add_f16_e32 v139, v25, v6
	v_sub_f16_e32 v140, v22, v3
	v_sub_f16_e32 v141, v25, v6
	;; [unrolled: 1-line block ×4, first 2 shown]
	v_add_f16_e32 v142, v61, v59
	v_add_f16_e32 v143, v62, v60
	;; [unrolled: 1-line block ×3, first 2 shown]
	v_sub_f16_e32 v149, v26, v7
	v_sub_f16_e32 v7, v7, v46
	v_add_f16_e32 v51, v51, v125
	v_add_f16_e32 v52, v52, v127
	v_sub_f16_e32 v5, v1, v5
	v_sub_f16_e32 v24, v43, v24
	;; [unrolled: 1-line block ×14, first 2 shown]
	v_add_f16_e32 v146, v23, v4
	v_sub_f16_e32 v148, v23, v4
	v_sub_f16_e32 v4, v4, v36
	v_add_f16_e32 v1, v130, v1
	v_add_f16_e32 v43, v131, v43
	v_mul_f16_e32 v47, 0x3a52, v47
	v_mul_f16_e32 v48, 0x3a52, v48
	;; [unrolled: 1-line block ×8, first 2 shown]
	v_add_f16_e32 v57, v57, v134
	v_add_f16_e32 v58, v58, v135
	;; [unrolled: 1-line block ×4, first 2 shown]
	v_mul_f16_e32 v134, 0x2b26, v55
	v_mul_f16_e32 v138, 0xb846, v140
	;; [unrolled: 1-line block ×5, first 2 shown]
	v_add_f16_e32 v63, v63, v142
	v_add_f16_e32 v64, v64, v143
	v_sub_f16_e32 v26, v46, v26
	v_add_f16_e32 v46, v147, v46
	v_mul_f16_e32 v147, 0xb846, v149
	v_mul_f16_e32 v149, 0x3b00, v7
	v_add_f16_e32 v150, v20, v51
	v_add_f16_sdwa v20, v20, v52 dst_sel:DWORD dst_unused:UNUSED_PAD src0_sel:WORD_1 src1_sel:DWORD
	v_sub_f16_e32 v23, v36, v23
	v_mul_f16_e32 v53, 0x3a52, v53
	v_mul_f16_e32 v54, 0x3a52, v54
	;; [unrolled: 1-line block ×3, first 2 shown]
	v_add_f16_e32 v36, v146, v36
	v_mul_f16_e32 v59, 0x3a52, v59
	v_mul_f16_e32 v60, 0x3a52, v60
	;; [unrolled: 1-line block ×5, first 2 shown]
	v_fmamk_f16 v49, v49, 0x2b26, v47
	v_fmamk_f16 v151, v50, 0x2b26, v48
	v_fma_f16 v125, v128, 0x39e0, -v125
	v_fma_f16 v152, v129, 0x39e0, -v127
	;; [unrolled: 1-line block ×4, first 2 shown]
	v_fmamk_f16 v128, v5, 0x3574, v130
	v_fmamk_f16 v129, v24, 0x3574, v131
	v_fma_f16 v2, v2, 0x3b00, -v130
	v_fma_f16 v27, v27, 0x3b00, -v131
	v_fma_f16 v5, v5, 0xb574, -v132
	v_fma_f16 v24, v24, 0xb574, -v133
	v_add_f16_e32 v130, v21, v57
	v_add_f16_sdwa v21, v21, v58 dst_sel:DWORD dst_unused:UNUSED_PAD src0_sel:WORD_1 src1_sel:DWORD
	v_fma_f16 v131, v136, 0x39e0, -v134
	v_fmamk_f16 v133, v22, 0x3574, v138
	v_fmamk_f16 v134, v25, 0x3574, v139
	v_fma_f16 v3, v3, 0x3b00, -v138
	v_fma_f16 v6, v6, 0x3b00, -v139
	;; [unrolled: 1-line block ×4, first 2 shown]
	v_add_f16_e32 v50, v0, v63
	v_add_f16_sdwa v127, v0, v64 dst_sel:DWORD dst_unused:UNUSED_PAD src0_sel:WORD_1 src1_sel:DWORD
	v_mul_f16_e32 v143, 0x2b26, v62
	v_fmamk_f16 v140, v26, 0x3574, v147
	v_fma_f16 v7, v7, 0x3b00, -v147
	v_fma_f16 v26, v26, 0xb574, -v149
	v_fmamk_f16 v51, v51, 0xbcab, v150
	v_fmamk_f16 v52, v52, 0xbcab, v20
	;; [unrolled: 1-line block ×4, first 2 shown]
	v_fma_f16 v132, v137, 0x39e0, -v135
	v_fma_f16 v54, v137, 0xb9e0, -v54
	v_fmamk_f16 v0, v61, 0x2b26, v59
	v_fmamk_f16 v61, v62, 0x2b26, v60
	v_fma_f16 v62, v144, 0x39e0, -v142
	v_fma_f16 v59, v144, 0xb9e0, -v59
	;; [unrolled: 1-line block ×3, first 2 shown]
	v_fmamk_f16 v139, v23, 0x3574, v146
	v_fma_f16 v23, v23, 0xb574, -v148
	v_fmac_f16_e32 v128, 0x370e, v1
	v_fmac_f16_e32 v129, 0x370e, v43
	;; [unrolled: 1-line block ×6, first 2 shown]
	v_fmamk_f16 v1, v57, 0xbcab, v130
	v_fmamk_f16 v43, v58, 0xbcab, v21
	v_fmac_f16_e32 v133, 0x370e, v44
	v_fmac_f16_e32 v134, 0x370e, v45
	;; [unrolled: 1-line block ×6, first 2 shown]
	v_fmamk_f16 v44, v63, 0xbcab, v50
	v_fmamk_f16 v45, v64, 0xbcab, v127
	v_fma_f16 v53, v136, 0xb9e0, -v53
	v_fma_f16 v135, v145, 0x39e0, -v143
	;; [unrolled: 1-line block ×3, first 2 shown]
	v_fmac_f16_e32 v140, 0x370e, v46
	v_fmac_f16_e32 v7, 0x370e, v46
	;; [unrolled: 1-line block ×3, first 2 shown]
	v_add_f16_e32 v46, v49, v51
	v_add_f16_e32 v49, v151, v52
	;; [unrolled: 1-line block ×6, first 2 shown]
	v_fmac_f16_e32 v139, 0x370e, v36
	v_fmac_f16_e32 v23, 0x370e, v36
	v_add_f16_e32 v51, v55, v1
	v_add_f16_e32 v52, v56, v43
	;; [unrolled: 1-line block ×10, first 2 shown]
	v_fmac_f16_e32 v4, 0x370e, v36
	v_add_f16_e32 v1, v53, v1
	v_add_f16_e32 v62, v135, v45
	;; [unrolled: 1-line block ×3, first 2 shown]
	v_sub_f16_e32 v63, v49, v128
	v_add_f16_e32 v64, v24, v47
	v_sub_f16_e32 v132, v48, v5
	v_sub_f16_e32 v141, v57, v27
	v_add_f16_e32 v142, v2, v58
	v_add_f16_e32 v27, v27, v57
	v_sub_f16_e32 v2, v58, v2
	v_sub_f16_e32 v24, v47, v24
	v_add_f16_e32 v5, v5, v48
	v_sub_f16_e32 v47, v46, v129
	v_add_f16_e32 v48, v128, v49
	v_add_f16_e32 v57, v134, v51
	v_sub_f16_e32 v58, v52, v133
	v_sub_f16_e32 v144, v55, v6
	v_add_f16_e32 v145, v3, v56
	v_add_f16_e32 v45, v6, v55
	v_sub_f16_e32 v125, v56, v3
	v_sub_f16_e32 v128, v61, v139
	;; [unrolled: 1-line block ×3, first 2 shown]
	v_add_f16_e32 v138, v23, v59
	v_sub_f16_e32 v56, v0, v140
	v_add_f16_e32 v139, v139, v61
	v_pack_b32_f16 v20, v150, v20
	v_pack_b32_f16 v21, v130, v21
	v_add_f16_e32 v129, v25, v1
	v_sub_f16_e32 v143, v43, v22
	v_sub_f16_e32 v46, v1, v25
	v_add_f16_e32 v130, v22, v43
	v_sub_f16_e32 v49, v51, v134
	v_add_f16_e32 v131, v133, v52
	v_add_f16_e32 v51, v140, v0
	;; [unrolled: 1-line block ×3, first 2 shown]
	v_sub_f16_e32 v135, v59, v23
	v_sub_f16_e32 v53, v54, v7
	v_add_f16_e32 v136, v4, v62
	v_add_f16_e32 v54, v7, v54
	v_sub_f16_e32 v137, v62, v4
	v_pack_b32_f16 v0, v60, v63
	v_pack_b32_f16 v1, v64, v132
	;; [unrolled: 1-line block ×19, first 2 shown]
	ds_write2_b32 v120, v20, v0 offset1:12
	ds_write2_b32 v120, v1, v3 offset0:24 offset1:36
	ds_write2_b32 v120, v2, v4 offset0:48 offset1:60
	ds_write_b32 v120, v5 offset:288
	ds_write2_b32 v119, v21, v6 offset1:12
	ds_write2_b32 v119, v7, v22 offset0:24 offset1:36
	ds_write2_b32 v119, v23, v24 offset0:48 offset1:60
	ds_write_b32 v119, v25 offset:288
	;; [unrolled: 4-line block ×3, first 2 shown]
	s_waitcnt lgkmcnt(0)
	s_barrier
	buffer_gl0_inv
	ds_read2_b32 v[47:48], v65 offset1:84
	ds_read2_b32 v[63:64], v65 offset0:168 offset1:252
	ds_read2_b32 v[61:62], v122 offset0:80 offset1:164
	;; [unrolled: 1-line block ×4, first 2 shown]
	ds_read_b32 v129, v65 offset:3360
	s_and_saveexec_b32 s1, s0
	s_cbranch_execz .LBB0_13
; %bb.12:
	v_add_nc_u32_e32 v0, 0x200, v65
	v_add_nc_u32_e32 v1, 0xa00, v65
	ds_read2_b32 v[45:46], v65 offset0:44 offset1:128
	ds_read2_b32 v[51:52], v122 offset0:124 offset1:208
	;; [unrolled: 1-line block ×5, first 2 shown]
	ds_read_b32 v123, v65 offset:3536
	s_waitcnt lgkmcnt(3)
	v_lshrrev_b32_e32 v136, 16, v53
	v_lshrrev_b32_e32 v125, 16, v45
	;; [unrolled: 1-line block ×6, first 2 shown]
	s_waitcnt lgkmcnt(2)
	v_lshrrev_b32_e32 v131, 16, v49
	v_lshrrev_b32_e32 v127, 16, v50
	s_waitcnt lgkmcnt(1)
	v_lshrrev_b32_e32 v138, 16, v55
	v_lshrrev_b32_e32 v139, 16, v56
	s_waitcnt lgkmcnt(0)
	v_lshrrev_b32_e32 v124, 16, v123
.LBB0_13:
	s_or_b32 exec_lo, exec_lo, s1
	v_mad_u64_u32 v[0:1], null, v83, 40, s[2:3]
	s_waitcnt lgkmcnt(5)
	v_lshrrev_b32_e32 v132, 16, v48
	s_waitcnt lgkmcnt(4)
	v_lshrrev_b32_e32 v133, 16, v63
	;; [unrolled: 2-line block ×3, first 2 shown]
	v_lshrrev_b32_e32 v134, 16, v64
	v_lshrrev_b32_e32 v143, 16, v61
	;; [unrolled: 1-line block ×3, first 2 shown]
	s_clause 0x2
	global_load_dwordx4 v[24:27], v[0:1], off offset:328
	global_load_dwordx4 v[20:23], v[0:1], off offset:344
	global_load_dwordx2 v[43:44], v[0:1], off offset:360
	v_subrev_nc_u32_e32 v0, 40, v83
	v_lshrrev_b32_e32 v153, 16, v60
	v_lshrrev_b32_e32 v155, 16, v58
	;; [unrolled: 1-line block ×4, first 2 shown]
	v_cndmask_b32_e64 v0, v0, v35, s0
	v_mul_i32_i24_e32 v1, 40, v0
	v_mul_hi_i32_i24_e32 v0, 40, v0
	v_add_co_u32 v35, s1, s2, v1
	v_add_co_ci_u32_e64 v36, s1, s3, v0, s1
	s_clause 0x2
	global_load_dwordx4 v[4:7], v[35:36], off offset:328
	global_load_dwordx4 v[0:3], v[35:36], off offset:344
	global_load_dwordx2 v[35:36], v[35:36], off offset:360
	s_waitcnt vmcnt(5)
	v_mul_f16_sdwa v148, v132, v24 dst_sel:DWORD dst_unused:UNUSED_PAD src0_sel:DWORD src1_sel:WORD_1
	v_mul_f16_sdwa v157, v48, v24 dst_sel:DWORD dst_unused:UNUSED_PAD src0_sel:DWORD src1_sel:WORD_1
	;; [unrolled: 1-line block ×6, first 2 shown]
	s_waitcnt vmcnt(3)
	v_mul_f16_sdwa v141, v58, v43 dst_sel:DWORD dst_unused:UNUSED_PAD src0_sel:DWORD src1_sel:WORD_1
	v_mul_f16_sdwa v166, v156, v44 dst_sel:DWORD dst_unused:UNUSED_PAD src0_sel:DWORD src1_sel:WORD_1
	;; [unrolled: 1-line block ×3, first 2 shown]
	v_fma_f16 v48, v48, v24, -v148
	v_fmac_f16_e32 v157, v132, v24
	v_mul_f16_sdwa v152, v134, v26 dst_sel:DWORD dst_unused:UNUSED_PAD src0_sel:DWORD src1_sel:WORD_1
	v_mul_f16_sdwa v160, v143, v27 dst_sel:DWORD dst_unused:UNUSED_PAD src0_sel:DWORD src1_sel:WORD_1
	;; [unrolled: 1-line block ×6, first 2 shown]
	v_fma_f16 v132, v63, v25, -v150
	v_fmac_f16_e32 v158, v133, v25
	v_fmac_f16_e32 v159, v134, v26
	;; [unrolled: 1-line block ×3, first 2 shown]
	v_fma_f16 v143, v129, v44, -v166
	v_fmac_f16_e32 v140, v156, v44
	v_fmac_f16_e32 v141, v155, v43
	v_add_f16_e32 v133, v47, v48
	v_add_f16_sdwa v134, v47, v157 dst_sel:DWORD dst_unused:UNUSED_PAD src0_sel:WORD_1 src1_sel:DWORD
	v_mul_f16_sdwa v162, v146, v21 dst_sel:DWORD dst_unused:UNUSED_PAD src0_sel:DWORD src1_sel:WORD_1
	v_mul_f16_sdwa v147, v59, v21 dst_sel:DWORD dst_unused:UNUSED_PAD src0_sel:DWORD src1_sel:WORD_1
	;; [unrolled: 1-line block ×5, first 2 shown]
	v_fma_f16 v167, v64, v26, -v152
	v_fma_f16 v152, v62, v20, -v161
	v_fmac_f16_e32 v149, v144, v20
	v_fma_f16 v148, v60, v22, -v163
	v_fma_f16 v144, v58, v43, -v165
	v_sub_f16_e32 v155, v48, v143
	v_sub_f16_e32 v156, v157, v140
	v_add_f16_e32 v161, v158, v141
	v_sub_f16_e32 v163, v158, v141
	s_waitcnt vmcnt(2)
	v_mul_f16_sdwa v129, v46, v4 dst_sel:DWORD dst_unused:UNUSED_PAD src0_sel:DWORD src1_sel:WORD_1
	v_mul_f16_sdwa v64, v49, v5 dst_sel:DWORD dst_unused:UNUSED_PAD src0_sel:DWORD src1_sel:WORD_1
	;; [unrolled: 1-line block ×3, first 2 shown]
	s_waitcnt vmcnt(1)
	v_mul_f16_sdwa v181, v135, v0 dst_sel:DWORD dst_unused:UNUSED_PAD src0_sel:DWORD src1_sel:WORD_1
	v_mul_f16_sdwa v182, v136, v1 dst_sel:DWORD dst_unused:UNUSED_PAD src0_sel:DWORD src1_sel:WORD_1
	;; [unrolled: 1-line block ×3, first 2 shown]
	v_add_f16_e32 v187, v133, v132
	v_add_f16_e32 v158, v134, v158
	v_fma_f16 v160, v61, v27, -v160
	v_fma_f16 v150, v59, v21, -v162
	v_fmac_f16_e32 v147, v146, v21
	v_fmac_f16_e32 v145, v153, v22
	v_fma_f16 v146, v57, v23, -v164
	v_fmac_f16_e32 v142, v154, v23
	v_add_f16_e32 v153, v48, v143
	v_add_f16_e32 v154, v157, v140
	v_sub_f16_e32 v162, v132, v144
	v_mul_f16_sdwa v177, v130, v4 dst_sel:DWORD dst_unused:UNUSED_PAD src0_sel:DWORD src1_sel:WORD_1
	v_mul_f16_sdwa v178, v131, v5 dst_sel:DWORD dst_unused:UNUSED_PAD src0_sel:DWORD src1_sel:WORD_1
	;; [unrolled: 1-line block ×10, first 2 shown]
	s_waitcnt vmcnt(0)
	v_mul_f16_sdwa v185, v139, v35 dst_sel:DWORD dst_unused:UNUSED_PAD src0_sel:DWORD src1_sel:WORD_1
	v_mul_f16_sdwa v57, v56, v35 dst_sel:DWORD dst_unused:UNUSED_PAD src0_sel:DWORD src1_sel:WORD_1
	;; [unrolled: 1-line block ×4, first 2 shown]
	v_mul_f16_e32 v188, 0xb853, v156
	v_mul_f16_e32 v189, 0xb853, v155
	v_mul_f16_e32 v190, 0xbb47, v156
	v_mul_f16_e32 v191, 0xbb47, v155
	v_mul_f16_e32 v192, 0xbbeb, v156
	v_mul_f16_e32 v193, 0xbbeb, v155
	v_mul_f16_e32 v194, 0xba0c, v156
	v_mul_f16_e32 v195, 0xba0c, v155
	v_mul_f16_e32 v156, 0xb482, v156
	v_mul_f16_e32 v155, 0xb482, v155
	v_fmac_f16_e32 v129, v130, v4
	v_fmac_f16_e32 v64, v131, v5
	v_fma_f16 v131, v51, v7, -v180
	v_fma_f16 v130, v52, v0, -v181
	;; [unrolled: 1-line block ×4, first 2 shown]
	v_add_f16_e32 v53, v187, v167
	v_add_f16_e32 v54, v158, v159
	;; [unrolled: 1-line block ×5, first 2 shown]
	v_sub_f16_e32 v166, v167, v146
	v_sub_f16_e32 v168, v159, v142
	v_mul_f16_e32 v196, 0xbb47, v163
	v_mul_f16_e32 v197, 0xbb47, v162
	;; [unrolled: 1-line block ×10, first 2 shown]
	v_fma_f16 v134, v46, v4, -v177
	v_fma_f16 v133, v49, v5, -v178
	;; [unrolled: 1-line block ×3, first 2 shown]
	v_fmac_f16_e32 v63, v127, v6
	v_fmac_f16_e32 v62, v128, v7
	;; [unrolled: 1-line block ×5, first 2 shown]
	v_fma_f16 v50, v55, v3, -v184
	v_fmac_f16_e32 v58, v138, v3
	v_fma_f16 v49, v56, v35, -v185
	v_fmac_f16_e32 v57, v139, v35
	v_fma_f16 v46, v123, v36, -v186
	v_fmac_f16_e32 v48, v124, v36
	v_fma_f16 v55, v153, 0x3abb, -v188
	v_fmamk_f16 v56, v154, 0x3abb, v189
	v_fmac_f16_e32 v188, 0x3abb, v153
	v_fma_f16 v123, v154, 0x3abb, -v189
	v_fma_f16 v124, v153, 0x36a6, -v190
	v_fmamk_f16 v127, v154, 0x36a6, v191
	v_fmac_f16_e32 v190, 0x36a6, v153
	v_fma_f16 v128, v154, 0x36a6, -v191
	;; [unrolled: 4-line block ×5, first 2 shown]
	v_add_f16_e32 v53, v53, v160
	v_add_f16_e32 v54, v54, v151
	;; [unrolled: 1-line block ×4, first 2 shown]
	v_sub_f16_e32 v171, v160, v148
	v_sub_f16_e32 v172, v151, v145
	v_mul_f16_e32 v204, 0xbbeb, v168
	v_mul_f16_e32 v205, 0xbbeb, v166
	;; [unrolled: 1-line block ×10, first 2 shown]
	v_fma_f16 v154, v157, 0x36a6, -v196
	v_fmac_f16_e32 v196, 0x36a6, v157
	v_fma_f16 v178, v157, 0xb93d, -v198
	v_fmac_f16_e32 v198, 0xb93d, v157
	;; [unrolled: 2-line block ×4, first 2 shown]
	v_fma_f16 v186, v161, 0xb08e, -v203
	v_fma_f16 v187, v157, 0x3abb, -v163
	v_fmamk_f16 v189, v161, 0x3abb, v162
	v_fmac_f16_e32 v163, 0x3abb, v157
	v_fma_f16 v157, v161, 0x3abb, -v162
	v_add_f16_e32 v55, v47, v55
	v_add_f16_sdwa v56, v47, v56 dst_sel:DWORD dst_unused:UNUSED_PAD src0_sel:WORD_1 src1_sel:DWORD
	v_add_f16_e32 v151, v47, v188
	v_add_f16_sdwa v123, v47, v123 dst_sel:DWORD dst_unused:UNUSED_PAD src0_sel:WORD_1 src1_sel:DWORD
	;; [unrolled: 2-line block ×10, first 2 shown]
	v_add_f16_e32 v53, v53, v152
	v_add_f16_e32 v54, v54, v149
	;; [unrolled: 1-line block ×3, first 2 shown]
	v_sub_f16_e32 v175, v152, v150
	v_mul_f16_e32 v212, 0xba0c, v172
	v_mul_f16_e32 v213, 0xba0c, v171
	;; [unrolled: 1-line block ×10, first 2 shown]
	v_fmamk_f16 v155, v161, 0x36a6, v197
	v_fma_f16 v177, v161, 0x36a6, -v197
	v_fmamk_f16 v179, v161, 0xb93d, v199
	v_fma_f16 v180, v161, 0xb93d, -v199
	;; [unrolled: 2-line block ×4, first 2 shown]
	v_fmamk_f16 v162, v165, 0xb08e, v205
	v_fmac_f16_e32 v204, 0xb08e, v164
	v_fma_f16 v191, v165, 0xb08e, -v205
	v_fma_f16 v193, v164, 0xbbad, -v206
	v_fmamk_f16 v195, v165, 0xbbad, v207
	v_fmac_f16_e32 v206, 0xbbad, v164
	v_fma_f16 v197, v165, 0xbbad, -v207
	v_fma_f16 v199, v164, 0x36a6, -v208
	;; [unrolled: 4-line block ×4, first 2 shown]
	v_fmamk_f16 v228, v165, 0xb93d, v166
	v_fmac_f16_e32 v168, 0xb93d, v164
	v_fma_f16 v164, v165, 0xb93d, -v166
	v_add_f16_e32 v55, v154, v55
	v_add_f16_e32 v152, v200, v188
	;; [unrolled: 1-line block ×7, first 2 shown]
	v_sub_f16_e32 v176, v149, v147
	v_fma_f16 v165, v169, 0xb93d, -v212
	v_fmac_f16_e32 v212, 0xb93d, v169
	v_fma_f16 v229, v169, 0xb08e, -v214
	v_fmac_f16_e32 v214, 0xb08e, v169
	;; [unrolled: 2-line block ×3, first 2 shown]
	v_fma_f16 v233, v169, 0xbbad, -v218
	v_fmamk_f16 v234, v170, 0xbbad, v219
	v_fmac_f16_e32 v218, 0xbbad, v169
	v_fma_f16 v219, v170, 0xbbad, -v219
	v_fma_f16 v235, v169, 0x36a6, -v172
	v_fmamk_f16 v236, v170, 0x36a6, v171
	v_fmac_f16_e32 v172, 0x36a6, v169
	v_fma_f16 v169, v170, 0x36a6, -v171
	v_add_f16_e32 v123, v177, v123
	v_add_f16_e32 v124, v178, v124
	;; [unrolled: 1-line block ×9, first 2 shown]
	v_mul_f16_e32 v221, 0xb482, v175
	v_mul_f16_e32 v222, 0x3853, v176
	v_fmamk_f16 v166, v170, 0xb93d, v213
	v_fma_f16 v213, v170, 0xb93d, -v213
	v_add_f16_e32 v56, v155, v56
	v_add_f16_e32 v149, v196, v151
	;; [unrolled: 1-line block ×13, first 2 shown]
	v_mul_f16_e32 v220, 0xb482, v176
	v_mul_f16_e32 v224, 0xba0c, v176
	;; [unrolled: 1-line block ×5, first 2 shown]
	v_fmamk_f16 v171, v174, 0xbbad, v221
	v_fma_f16 v221, v174, 0xbbad, -v221
	v_fma_f16 v237, v173, 0x3abb, -v222
	v_add_f16_e32 v55, v161, v55
	v_add_f16_e32 v147, v204, v149
	;; [unrolled: 1-line block ×9, first 2 shown]
	v_fmamk_f16 v230, v170, 0xb08e, v215
	v_fma_f16 v215, v170, 0xb08e, -v215
	v_fmamk_f16 v232, v170, 0x3abb, v217
	v_fma_f16 v217, v170, 0x3abb, -v217
	v_fma_f16 v170, v173, 0xbbad, -v220
	v_add_f16_e32 v136, v182, v136
	v_add_f16_e32 v55, v165, v55
	;; [unrolled: 1-line block ×10, first 2 shown]
	v_mul_f16_e32 v53, 0xbbeb, v175
	v_fma_f16 v47, v174, 0x36a6, -v227
	v_fma_f16 v54, v173, 0xb08e, -v176
	v_sub_f16_e32 v160, v129, v48
	v_mul_f16_e32 v223, 0x3853, v175
	v_mul_f16_e32 v225, 0xba0c, v175
	v_fma_f16 v239, v173, 0xb93d, -v224
	v_fmac_f16_e32 v224, 0xb93d, v173
	v_add_f16_e32 v127, v179, v127
	v_add_f16_e32 v128, v180, v128
	;; [unrolled: 1-line block ×7, first 2 shown]
	v_fmamk_f16 v55, v174, 0xb08e, v53
	v_add_f16_e32 v188, v47, v150
	v_add_f16_e32 v189, v54, v151
	;; [unrolled: 1-line block ×3, first 2 shown]
	v_mul_f16_e32 v47, 0xb853, v160
	v_fma_f16 v54, v174, 0xb08e, -v53
	v_sub_f16_e32 v161, v64, v57
	v_fmamk_f16 v238, v174, 0x3abb, v223
	v_fma_f16 v223, v174, 0x3abb, -v223
	v_fmamk_f16 v240, v174, 0xb93d, v225
	v_fma_f16 v225, v174, 0xb93d, -v225
	v_fmamk_f16 v242, v174, 0x36a6, v227
	v_add_f16_e32 v137, v183, v137
	v_add_f16_e32 v138, v184, v138
	;; [unrolled: 1-line block ×11, first 2 shown]
	v_sub_f16_e32 v150, v134, v46
	v_fmamk_f16 v55, v143, 0x3abb, v47
	v_add_f16_e32 v174, v54, v154
	v_add_f16_e32 v148, v133, v49
	v_mul_f16_e32 v54, 0xbb47, v161
	v_fmac_f16_e32 v222, 0x3abb, v173
	v_add_f16_e32 v137, v203, v137
	v_add_f16_e32 v138, v205, v138
	;; [unrolled: 1-line block ×9, first 2 shown]
	v_fmac_f16_e32 v176, 0xb08e, v173
	v_add_f16_e32 v162, v129, v48
	v_mul_f16_e32 v53, 0xb853, v150
	v_add_f16_e32 v56, v45, v55
	v_mul_f16_e32 v140, 0xbb47, v160
	v_mul_f16_e32 v146, 0xbb47, v150
	v_sub_f16_e32 v154, v133, v49
	v_fmamk_f16 v136, v148, 0x36a6, v54
	v_sub_f16_e32 v163, v63, v58
	v_fmac_f16_e32 v220, 0xbbad, v173
	v_fma_f16 v241, v173, 0x36a6, -v226
	v_fmac_f16_e32 v226, 0x36a6, v173
	v_add_f16_e32 v137, v217, v137
	v_add_f16_e32 v138, v233, v138
	;; [unrolled: 1-line block ×8, first 2 shown]
	v_fma_f16 v127, v162, 0x3abb, -v53
	v_fmamk_f16 v128, v143, 0x36a6, v140
	v_fma_f16 v135, v162, 0x36a6, -v146
	v_add_f16_e32 v164, v64, v57
	v_mul_f16_e32 v55, 0xbb47, v154
	v_add_f16_e32 v136, v136, v56
	v_mul_f16_e32 v147, 0xba0c, v161
	v_sub_f16_e32 v156, v132, v50
	v_add_f16_e32 v153, v132, v50
	v_mul_f16_e32 v56, 0xbbeb, v163
	v_add_f16_e32 v185, v225, v137
	v_add_f16_e32 v186, v241, v138
	;; [unrolled: 1-line block ×6, first 2 shown]
	v_fma_f16 v138, v164, 0x36a6, -v55
	v_mul_f16_e32 v151, 0xba0c, v154
	v_add_f16_e32 v166, v63, v58
	v_mul_f16_e32 v135, 0xbbeb, v156
	v_fmamk_f16 v139, v148, 0xb93d, v147
	v_fmamk_f16 v142, v153, 0xb08e, v56
	v_sub_f16_e32 v165, v62, v59
	v_fma_f16 v141, v164, 0xb93d, -v151
	v_add_f16_e32 v127, v138, v127
	v_fma_f16 v138, v166, 0xb08e, -v135
	v_add_f16_e32 v128, v139, v128
	v_add_f16_e32 v142, v142, v136
	v_mul_f16_e32 v139, 0x3482, v163
	v_sub_f16_e32 v158, v131, v51
	v_add_f16_e32 v157, v131, v51
	v_mul_f16_e32 v136, 0xba0c, v165
	v_add_f16_e32 v172, v220, v145
	v_add_f16_e32 v175, v226, v149
	;; [unrolled: 1-line block ×4, first 2 shown]
	v_mul_f16_e32 v155, 0x3482, v156
	v_fmamk_f16 v138, v153, 0xbbad, v139
	v_add_f16_e32 v168, v62, v59
	v_mul_f16_e32 v137, 0xba0c, v158
	v_mul_f16_e32 v145, 0x3beb, v165
	v_fmamk_f16 v149, v157, 0xb93d, v136
	v_fma_f16 v144, v166, 0xbbad, -v155
	v_add_f16_e32 v128, v138, v128
	v_fma_f16 v138, v168, 0xb93d, -v137
	v_fmamk_f16 v152, v157, 0xb08e, v145
	v_add_f16_e32 v191, v149, v142
	v_mul_f16_e32 v149, 0x3beb, v158
	v_sub_f16_e32 v167, v61, v60
	v_sub_f16_e32 v159, v130, v52
	v_add_f16_e32 v176, v144, v141
	v_add_f16_e32 v192, v138, v127
	;; [unrolled: 1-line block ×3, first 2 shown]
	v_fma_f16 v127, v168, 0xb08e, -v149
	v_add_f16_e32 v138, v130, v52
	v_add_f16_e32 v169, v61, v60
	v_mul_f16_e32 v141, 0xb482, v167
	v_mul_f16_e32 v144, 0xb482, v159
	;; [unrolled: 1-line block ×4, first 2 shown]
	v_add_f16_e32 v176, v127, v176
	v_fmamk_f16 v127, v138, 0xbbad, v141
	v_fma_f16 v128, v169, 0xbbad, -v144
	v_fmamk_f16 v194, v138, 0x3abb, v142
	v_fma_f16 v195, v169, 0x3abb, -v152
	v_pack_b32_f16 v196, v123, v124
	v_pack_b32_f16 v170, v170, v171
	v_add_f16_e32 v127, v127, v191
	v_add_f16_e32 v128, v128, v192
	;; [unrolled: 1-line block ×4, first 2 shown]
	ds_write2_b32 v65, v196, v170 offset1:84
	v_pack_b32_f16 v170, v178, v179
	v_pack_b32_f16 v171, v182, v183
	;; [unrolled: 1-line block ×9, first 2 shown]
	ds_write2_b32 v65, v170, v171 offset0:168 offset1:252
	ds_write2_b32 v122, v176, v178 offset0:80 offset1:164
	;; [unrolled: 1-line block ×4, first 2 shown]
	ds_write_b32 v65, v172 offset:3360
	s_and_saveexec_b32 s1, s0
	s_cbranch_execz .LBB0_15
; %bb.14:
	v_mul_f16_e32 v177, 0xb08e, v162
	v_mul_f16_e32 v183, 0xbbad, v164
	v_mul_f16_e32 v188, 0x36a6, v166
	v_mul_f16_e32 v191, 0xbbeb, v160
	v_mul_f16_e32 v192, 0x3abb, v168
	v_fmamk_f16 v182, v150, 0x3beb, v177
	v_fmamk_f16 v187, v154, 0xb482, v183
	v_mul_f16_e32 v195, 0x3482, v161
	v_fmamk_f16 v194, v143, 0xb08e, v191
	v_mul_f16_e32 v196, 0xb93d, v169
	v_add_f16_e32 v182, v125, v182
	v_mul_f16_e32 v198, 0x3b47, v163
	v_fmamk_f16 v197, v148, 0xbbad, v195
	v_add_f16_e32 v194, v45, v194
	v_mul_f16_e32 v199, 0xb93d, v162
	v_add_f16_e32 v182, v187, v182
	v_fmamk_f16 v187, v156, 0xbb47, v188
	v_mul_f16_e32 v200, 0xb853, v165
	v_add_f16_e32 v194, v197, v194
	v_fmamk_f16 v197, v153, 0x36a6, v198
	;; [unrolled: 3-line block ×4, first 2 shown]
	v_fmamk_f16 v203, v154, 0xbbeb, v201
	v_add_f16_e32 v182, v187, v182
	v_fmamk_f16 v187, v159, 0x3a0c, v196
	v_mul_f16_e32 v204, 0x3abb, v166
	v_add_f16_e32 v194, v197, v194
	v_fmamk_f16 v197, v138, 0xb93d, v202
	v_mul_f16_e32 v205, 0xba0c, v160
	;; [unrolled: 3-line block ×4, first 2 shown]
	v_add_f16_e32 v187, v125, v187
	v_mul_f16_e32 v208, 0x36a6, v169
	v_mul_f16_e32 v210, 0xb853, v163
	v_add_f16_e32 v197, v45, v197
	v_fmamk_f16 v209, v148, 0xb08e, v207
	v_add_f16_e32 v187, v203, v187
	v_fmamk_f16 v203, v156, 0x3853, v204
	v_mul_f16_e32 v122, 0x3abb, v162
	v_mul_f16_e32 v170, 0x36a6, v162
	;; [unrolled: 1-line block ×3, first 2 shown]
	v_add_f16_e32 v197, v209, v197
	v_add_f16_e32 v187, v203, v187
	v_fmamk_f16 v203, v158, 0x3482, v206
	v_fmamk_f16 v209, v153, 0x3abb, v210
	v_mul_f16_e32 v211, 0xb482, v165
	v_mul_f16_e32 v172, 0x36a6, v164
	;; [unrolled: 1-line block ×3, first 2 shown]
	v_add_f16_e32 v187, v203, v187
	v_fmamk_f16 v203, v159, 0xbb47, v208
	v_mul_f16_e32 v164, 0x3abb, v164
	v_add_f16_e32 v197, v209, v197
	v_fmamk_f16 v209, v157, 0xbbad, v211
	v_mul_f16_e32 v212, 0x3b47, v167
	;; [unrolled: 3-line block ×3, first 2 shown]
	v_mul_f16_e32 v179, 0xbbad, v166
	v_fmamk_f16 v213, v154, 0xb853, v164
	v_mul_f16_e32 v166, 0xb93d, v166
	v_add_f16_e32 v203, v125, v203
	v_add_f16_e32 v197, v209, v197
	v_fmamk_f16 v209, v138, 0x36a6, v212
	v_mul_f16_e32 v160, 0xb482, v160
	v_mul_f16_e32 v181, 0xb93d, v168
	;; [unrolled: 1-line block ×3, first 2 shown]
	v_add_f16_e32 v203, v213, v203
	v_fmamk_f16 v213, v156, 0x3a0c, v166
	v_mul_f16_e32 v168, 0x36a6, v168
	v_add_f16_e32 v197, v209, v197
	v_fmamk_f16 v209, v143, 0xbbad, v160
	v_mul_f16_e32 v161, 0x3853, v161
	v_fma_f16 v160, v143, 0xbbad, -v160
	v_add_f16_e32 v134, v45, v134
	v_add_f16_e32 v129, v125, v129
	v_mul_f16_e32 v189, 0xbbad, v169
	v_mul_f16_e32 v193, 0x3abb, v169
	v_add_f16_e32 v203, v213, v203
	v_fmamk_f16 v213, v158, 0xbb47, v168
	v_mul_f16_e32 v169, 0xb08e, v169
	v_fmamk_f16 v214, v148, 0x3abb, v161
	v_mul_f16_e32 v163, 0xba0c, v163
	v_add_f16_e32 v160, v45, v160
	v_fma_f16 v161, v148, 0x3abb, -v161
	v_add_f16_e32 v133, v134, v133
	v_add_f16_e32 v64, v129, v64
	v_mul_f16_e32 v121, 0x3abb, v143
	v_mul_f16_e32 v126, 0x36a6, v143
	v_add_f16_e32 v203, v213, v203
	v_fmamk_f16 v213, v159, 0x3beb, v169
	v_mul_f16_e32 v165, 0x3b47, v165
	v_add_f16_e32 v160, v161, v160
	v_fma_f16 v161, v153, 0xb93d, -v163
	v_add_f16_e32 v132, v133, v132
	v_add_f16_e32 v63, v64, v63
	v_add_f16_e32 v209, v45, v209
	v_add_f16_e32 v203, v213, v203
	v_fmamk_f16 v213, v157, 0x36a6, v165
	v_fmac_f16_e32 v199, 0xba0c, v150
	v_add_f16_e32 v160, v161, v160
	v_fma_f16 v161, v157, 0x36a6, -v165
	v_fma_f16 v165, v143, 0xb93d, -v205
	;; [unrolled: 1-line block ×3, first 2 shown]
	v_sub_f16_e32 v126, v126, v140
	v_sub_f16_e32 v47, v121, v47
	v_add_f16_e32 v121, v132, v131
	v_add_f16_e32 v62, v63, v62
	v_mul_f16_e32 v171, 0x36a6, v148
	v_add_f16_e32 v209, v214, v209
	v_fmamk_f16 v214, v153, 0xb93d, v163
	v_add_f16_e32 v163, v125, v199
	v_fmac_f16_e32 v201, 0x3beb, v154
	v_add_f16_e32 v160, v161, v160
	v_add_f16_e32 v161, v45, v165
	;; [unrolled: 1-line block ×8, first 2 shown]
	v_mul_f16_e32 v173, 0xb93d, v148
	v_mul_f16_e32 v175, 0xb08e, v153
	v_add_f16_e32 v163, v201, v163
	v_fmac_f16_e32 v204, 0xb853, v156
	v_fma_f16 v165, v148, 0xb08e, -v207
	v_fmac_f16_e32 v177, 0xbbeb, v150
	v_add_f16_e32 v146, v146, v170
	v_add_f16_e32 v53, v125, v53
	;; [unrolled: 1-line block ×3, first 2 shown]
	v_sub_f16_e32 v54, v171, v54
	v_add_f16_e32 v47, v47, v52
	v_add_f16_e32 v52, v61, v60
	v_fmac_f16_e32 v162, 0xb482, v150
	v_mul_f16_e32 v178, 0xbbad, v153
	v_mul_f16_e32 v180, 0xb93d, v157
	v_add_f16_e32 v163, v204, v163
	v_fmac_f16_e32 v206, 0xb482, v158
	v_add_f16_e32 v150, v165, v161
	v_add_f16_e32 v165, v125, v177
	v_fmac_f16_e32 v183, 0x3482, v154
	v_fma_f16 v148, v148, 0xbbad, -v195
	v_add_f16_e32 v146, v125, v146
	v_add_f16_e32 v151, v151, v174
	v_sub_f16_e32 v147, v173, v147
	v_add_f16_e32 v53, v55, v53
	v_add_f16_e32 v55, v135, v176
	;; [unrolled: 1-line block ×3, first 2 shown]
	v_sub_f16_e32 v54, v175, v56
	v_add_f16_e32 v47, v47, v51
	v_add_f16_e32 v51, v52, v59
	v_add_f16_e32 v162, v125, v162
	v_fmac_f16_e32 v164, 0x3853, v154
	v_mul_f16_e32 v184, 0xb08e, v157
	v_mul_f16_e32 v186, 0xbbad, v138
	v_add_f16_e32 v154, v206, v163
	v_add_f16_e32 v163, v183, v165
	v_fmac_f16_e32 v188, 0x3b47, v156
	v_add_f16_e32 v143, v148, v143
	v_fma_f16 v148, v153, 0x36a6, -v198
	v_add_f16_e32 v140, v151, v146
	v_add_f16_e32 v146, v155, v179
	;; [unrolled: 1-line block ×3, first 2 shown]
	v_sub_f16_e32 v139, v178, v139
	v_add_f16_e32 v53, v55, v53
	v_add_f16_e32 v52, v137, v181
	;; [unrolled: 1-line block ×3, first 2 shown]
	v_sub_f16_e32 v54, v180, v136
	v_add_f16_e32 v47, v47, v50
	v_add_f16_e32 v50, v51, v58
	;; [unrolled: 1-line block ×3, first 2 shown]
	v_fmac_f16_e32 v166, 0xba0c, v156
	v_fma_f16 v161, v153, 0x3abb, -v210
	v_mul_f16_e32 v190, 0x3abb, v138
	v_add_f16_e32 v156, v188, v163
	v_fmac_f16_e32 v192, 0xb853, v158
	v_add_f16_e32 v143, v148, v143
	v_fma_f16 v148, v157, 0x3abb, -v200
	v_add_f16_e32 v140, v146, v140
	v_add_f16_e32 v146, v149, v185
	;; [unrolled: 1-line block ×3, first 2 shown]
	v_sub_f16_e32 v64, v184, v145
	v_add_f16_e32 v51, v52, v53
	v_add_f16_e32 v52, v144, v189
	;; [unrolled: 1-line block ×5, first 2 shown]
	v_sub_f16_e32 v50, v186, v141
	v_mul_f16_e32 v167, 0xbbeb, v167
	v_add_f16_e32 v162, v166, v162
	v_fmac_f16_e32 v168, 0x3b47, v158
	v_add_f16_e32 v150, v161, v150
	v_fma_f16 v161, v157, 0xbbad, -v211
	v_add_f16_e32 v209, v214, v209
	v_add_f16_e32 v153, v192, v156
	v_fmac_f16_e32 v196, 0xba0c, v159
	v_add_f16_e32 v143, v148, v143
	v_add_f16_e32 v129, v146, v140
	;; [unrolled: 1-line block ×8, first 2 shown]
	v_sub_f16_e32 v48, v190, v142
	v_fma_f16 v49, v138, 0xb93d, -v202
	v_add_f16_e32 v162, v168, v162
	v_fmac_f16_e32 v169, 0xbbeb, v159
	v_fma_f16 v166, v138, 0xb08e, -v167
	v_fmac_f16_e32 v208, 0x3b47, v159
	v_add_f16_e32 v150, v161, v150
	v_fma_f16 v158, v138, 0x36a6, -v212
	v_add_f16_e32 v164, v213, v209
	v_fmamk_f16 v209, v138, 0xb08e, v167
	v_add_f16_e32 v151, v196, v153
	v_add_f16_e32 v50, v134, v129
	v_pack_b32_f16 v46, v46, v47
	v_pack_b32_f16 v45, v45, v51
	v_add_f16_e32 v47, v48, v53
	v_add_f16_e32 v48, v49, v143
	;; [unrolled: 1-line block ×7, first 2 shown]
	ds_write2_b32 v65, v46, v45 offset0:44 offset1:128
	v_pack_b32_f16 v45, v47, v50
	v_pack_b32_f16 v46, v48, v151
	v_add_nc_u32_e32 v47, 0x200, v65
	v_pack_b32_f16 v48, v51, v49
	v_pack_b32_f16 v49, v160, v162
	v_add_nc_u32_e32 v50, 0x400, v65
	;; [unrolled: 3-line block ×3, first 2 shown]
	v_pack_b32_f16 v54, v194, v182
	v_perm_b32 v55, v124, v123, 0x5040100
	v_add_nc_u32_e32 v56, 0xa00, v65
	v_perm_b32 v57, v128, v127, 0x5040100
	ds_write2_b32 v47, v45, v46 offset0:84 offset1:168
	ds_write2_b32 v50, v48, v49 offset0:124 offset1:208
	;; [unrolled: 1-line block ×4, first 2 shown]
	ds_write_b32 v65, v57 offset:3536
.LBB0_15:
	s_or_b32 exec_lo, exec_lo, s1
	s_waitcnt lgkmcnt(0)
	s_barrier
	buffer_gl0_inv
	global_load_dword v51, v[28:29], off offset:1648
	v_add_co_u32 v45, s1, 0xe70, v30
	v_add_co_ci_u32_e64 v46, s1, 0, v31, s1
	v_add_co_u32 v47, s1, 0x1000, v30
	v_add_co_ci_u32_e64 v48, s1, 0, v31, s1
	global_load_dword v55, v[45:46], off offset:176
	v_add_co_u32 v49, s1, 0x1800, v30
	s_clause 0x4
	global_load_dword v56, v[45:46], off offset:1848
	global_load_dword v131, v[45:46], off offset:2024
	global_load_dword v132, v[47:48], off offset:1800
	global_load_dword v133, v[45:46], off offset:352
	global_load_dword v134, v[45:46], off offset:528
	v_add_co_ci_u32_e64 v50, s1, 0, v31, s1
	s_clause 0xc
	global_load_dword v135, v[47:48], off offset:1976
	global_load_dword v136, v[45:46], off offset:704
	;; [unrolled: 1-line block ×13, first 2 shown]
	ds_read2_b32 v[47:48], v65 offset1:44
	v_add_nc_u32_e32 v57, 0x400, v65
	v_add_nc_u32_e32 v148, 0x600, v65
	;; [unrolled: 1-line block ×3, first 2 shown]
	s_waitcnt lgkmcnt(0)
	v_lshrrev_b32_e32 v49, 16, v47
	v_lshrrev_b32_e32 v58, 16, v48
	s_waitcnt vmcnt(19)
	v_mul_f16_sdwa v50, v49, v51 dst_sel:DWORD dst_unused:UNUSED_PAD src0_sel:DWORD src1_sel:WORD_1
	v_mul_f16_sdwa v52, v47, v51 dst_sel:DWORD dst_unused:UNUSED_PAD src0_sel:DWORD src1_sel:WORD_1
	v_fma_f16 v47, v47, v51, -v50
	v_fmac_f16_e32 v52, v49, v51
	s_waitcnt vmcnt(18)
	v_mul_f16_sdwa v59, v58, v55 dst_sel:DWORD dst_unused:UNUSED_PAD src0_sel:DWORD src1_sel:WORD_1
	v_mul_f16_sdwa v63, v48, v55 dst_sel:DWORD dst_unused:UNUSED_PAD src0_sel:DWORD src1_sel:WORD_1
	v_pack_b32_f16 v47, v47, v52
	v_fma_f16 v48, v48, v55, -v59
	v_fmac_f16_e32 v63, v58, v55
	ds_write_b32 v65, v47
	v_add_nc_u32_e32 v47, 0x800, v65
	ds_read2_b32 v[49:50], v57 offset0:206 offset1:250
	ds_read2_b32 v[51:52], v65 offset0:88 offset1:132
	v_add_nc_u32_e32 v55, 0xa00, v65
	ds_read2_b32 v[59:60], v65 offset0:176 offset1:220
	ds_read2_b32 v[53:54], v47 offset0:38 offset1:82
	v_add_nc_u32_e32 v58, 0xc00, v65
	ds_read2_b32 v[61:62], v47 offset0:126 offset1:170
	v_pack_b32_f16 v48, v48, v63
	ds_read2_b32 v[63:64], v57 offset0:8 offset1:52
	ds_read2_b32 v[121:122], v55 offset0:86 offset1:130
	;; [unrolled: 1-line block ×4, first 2 shown]
	s_waitcnt lgkmcnt(8)
	v_lshrrev_b32_e32 v150, 16, v49
	s_waitcnt vmcnt(17)
	v_mul_f16_sdwa v151, v49, v56 dst_sel:DWORD dst_unused:UNUSED_PAD src0_sel:DWORD src1_sel:WORD_1
	v_lshrrev_b32_e32 v152, 16, v50
	s_waitcnt vmcnt(16)
	v_mul_f16_sdwa v153, v50, v131 dst_sel:DWORD dst_unused:UNUSED_PAD src0_sel:DWORD src1_sel:WORD_1
	s_waitcnt lgkmcnt(7)
	v_lshrrev_b32_e32 v154, 16, v51
	s_waitcnt vmcnt(14)
	v_mul_f16_sdwa v155, v51, v133 dst_sel:DWORD dst_unused:UNUSED_PAD src0_sel:DWORD src1_sel:WORD_1
	s_waitcnt lgkmcnt(5)
	v_lshrrev_b32_e32 v156, 16, v53
	v_mul_f16_sdwa v157, v53, v132 dst_sel:DWORD dst_unused:UNUSED_PAD src0_sel:DWORD src1_sel:WORD_1
	v_lshrrev_b32_e32 v158, 16, v52
	s_waitcnt vmcnt(13)
	v_mul_f16_sdwa v159, v52, v134 dst_sel:DWORD dst_unused:UNUSED_PAD src0_sel:DWORD src1_sel:WORD_1
	v_lshrrev_b32_e32 v160, 16, v54
	s_waitcnt vmcnt(12)
	;; [unrolled: 3-line block ×3, first 2 shown]
	v_mul_f16_sdwa v163, v59, v136 dst_sel:DWORD dst_unused:UNUSED_PAD src0_sel:DWORD src1_sel:WORD_1
	s_waitcnt lgkmcnt(4)
	v_lshrrev_b32_e32 v164, 16, v61
	s_waitcnt vmcnt(10)
	v_mul_f16_sdwa v165, v61, v137 dst_sel:DWORD dst_unused:UNUSED_PAD src0_sel:DWORD src1_sel:WORD_1
	v_lshrrev_b32_e32 v166, 16, v60
	s_waitcnt vmcnt(9)
	v_mul_f16_sdwa v167, v60, v138 dst_sel:DWORD dst_unused:UNUSED_PAD src0_sel:DWORD src1_sel:WORD_1
	v_lshrrev_b32_e32 v168, 16, v62
	s_waitcnt vmcnt(8)
	v_mul_f16_sdwa v169, v62, v139 dst_sel:DWORD dst_unused:UNUSED_PAD src0_sel:DWORD src1_sel:WORD_1
	s_waitcnt lgkmcnt(3)
	v_lshrrev_b32_e32 v170, 16, v63
	s_waitcnt vmcnt(7)
	v_mul_f16_sdwa v171, v63, v140 dst_sel:DWORD dst_unused:UNUSED_PAD src0_sel:DWORD src1_sel:WORD_1
	s_waitcnt lgkmcnt(2)
	v_lshrrev_b32_e32 v172, 16, v121
	s_waitcnt vmcnt(6)
	v_mul_f16_sdwa v173, v121, v141 dst_sel:DWORD dst_unused:UNUSED_PAD src0_sel:DWORD src1_sel:WORD_1
	v_lshrrev_b32_e32 v174, 16, v64
	s_waitcnt vmcnt(5)
	v_mul_f16_sdwa v175, v64, v142 dst_sel:DWORD dst_unused:UNUSED_PAD src0_sel:DWORD src1_sel:WORD_1
	;; [unrolled: 3-line block ×3, first 2 shown]
	s_waitcnt lgkmcnt(1)
	v_lshrrev_b32_e32 v178, 16, v125
	s_waitcnt vmcnt(3)
	v_mul_f16_sdwa v179, v125, v144 dst_sel:DWORD dst_unused:UNUSED_PAD src0_sel:DWORD src1_sel:WORD_1
	s_waitcnt lgkmcnt(0)
	v_lshrrev_b32_e32 v180, 16, v129
	s_waitcnt vmcnt(2)
	v_mul_f16_sdwa v181, v129, v145 dst_sel:DWORD dst_unused:UNUSED_PAD src0_sel:DWORD src1_sel:WORD_1
	v_lshrrev_b32_e32 v182, 16, v126
	s_waitcnt vmcnt(1)
	v_mul_f16_sdwa v183, v126, v146 dst_sel:DWORD dst_unused:UNUSED_PAD src0_sel:DWORD src1_sel:WORD_1
	v_lshrrev_b32_e32 v184, 16, v130
	v_mul_f16_sdwa v186, v150, v56 dst_sel:DWORD dst_unused:UNUSED_PAD src0_sel:DWORD src1_sel:WORD_1
	v_fmac_f16_e32 v151, v150, v56
	v_mul_f16_sdwa v150, v152, v131 dst_sel:DWORD dst_unused:UNUSED_PAD src0_sel:DWORD src1_sel:WORD_1
	v_fmac_f16_e32 v153, v152, v131
	;; [unrolled: 2-line block ×10, first 2 shown]
	v_mul_f16_sdwa v168, v170, v140 dst_sel:DWORD dst_unused:UNUSED_PAD src0_sel:DWORD src1_sel:WORD_1
	s_waitcnt vmcnt(0)
	v_mul_f16_sdwa v185, v130, v147 dst_sel:DWORD dst_unused:UNUSED_PAD src0_sel:DWORD src1_sel:WORD_1
	v_fmac_f16_e32 v171, v170, v140
	v_mul_f16_sdwa v170, v172, v141 dst_sel:DWORD dst_unused:UNUSED_PAD src0_sel:DWORD src1_sel:WORD_1
	v_fmac_f16_e32 v173, v172, v141
	;; [unrolled: 2-line block ×7, first 2 shown]
	v_mul_f16_sdwa v182, v184, v147 dst_sel:DWORD dst_unused:UNUSED_PAD src0_sel:DWORD src1_sel:WORD_1
	v_fma_f16 v51, v51, v133, -v152
	v_fma_f16 v50, v50, v131, -v150
	;; [unrolled: 1-line block ×11, first 2 shown]
	v_fmac_f16_e32 v185, v184, v147
	v_fma_f16 v63, v121, v141, -v170
	v_fma_f16 v64, v64, v142, -v172
	;; [unrolled: 1-line block ×7, first 2 shown]
	v_pack_b32_f16 v51, v51, v155
	v_pack_b32_f16 v50, v50, v153
	;; [unrolled: 1-line block ×18, first 2 shown]
	ds_write2_b32 v65, v48, v51 offset0:44 offset1:88
	ds_write2_b32 v148, v50, v53 offset0:122 offset1:166
	;; [unrolled: 1-line block ×9, first 2 shown]
	ds_write_b32 v65, v129 offset:3432
	s_and_saveexec_b32 s2, vcc_lo
	s_cbranch_execz .LBB0_17
; %bb.16:
	v_add_co_u32 v48, s1, 0x800, v45
	v_add_co_ci_u32_e64 v49, s1, 0, v46, s1
	s_clause 0x1
	global_load_dword v45, v[45:46], off offset:1760
	global_load_dword v46, v[48:49], off offset:1560
	ds_read_b32 v48, v65 offset:1760
	ds_read_b32 v49, v65 offset:3608
	s_waitcnt lgkmcnt(1)
	v_lshrrev_b32_e32 v50, 16, v48
	s_waitcnt lgkmcnt(0)
	v_lshrrev_b32_e32 v51, 16, v49
	s_waitcnt vmcnt(1)
	v_mul_f16_sdwa v52, v50, v45 dst_sel:DWORD dst_unused:UNUSED_PAD src0_sel:DWORD src1_sel:WORD_1
	v_mul_f16_sdwa v53, v48, v45 dst_sel:DWORD dst_unused:UNUSED_PAD src0_sel:DWORD src1_sel:WORD_1
	s_waitcnt vmcnt(0)
	v_mul_f16_sdwa v54, v51, v46 dst_sel:DWORD dst_unused:UNUSED_PAD src0_sel:DWORD src1_sel:WORD_1
	v_mul_f16_sdwa v56, v49, v46 dst_sel:DWORD dst_unused:UNUSED_PAD src0_sel:DWORD src1_sel:WORD_1
	v_fma_f16 v48, v48, v45, -v52
	v_fmac_f16_e32 v53, v50, v45
	v_fma_f16 v45, v49, v46, -v54
	v_fmac_f16_e32 v56, v51, v46
	v_pack_b32_f16 v46, v48, v53
	v_pack_b32_f16 v45, v45, v56
	ds_write_b32 v65, v46 offset:1760
	ds_write_b32 v65, v45 offset:3608
.LBB0_17:
	s_or_b32 exec_lo, exec_lo, s2
	s_waitcnt lgkmcnt(0)
	s_barrier
	buffer_gl0_inv
	ds_read2_b32 v[53:54], v65 offset1:44
	ds_read2_b32 v[59:60], v57 offset0:206 offset1:250
	ds_read2_b32 v[51:52], v65 offset0:88 offset1:132
	;; [unrolled: 1-line block ×9, first 2 shown]
	v_lshlrev_b32_e32 v125, 2, v108
	v_lshlrev_b32_e32 v126, 2, v109
	;; [unrolled: 1-line block ×3, first 2 shown]
	s_and_saveexec_b32 s1, vcc_lo
	s_cbranch_execz .LBB0_19
; %bb.18:
	ds_read_b32 v123, v65 offset:1760
	ds_read_b32 v127, v65 offset:3608
	s_waitcnt lgkmcnt(1)
	v_lshrrev_b32_e32 v124, 16, v123
	s_waitcnt lgkmcnt(0)
	v_lshrrev_b32_e32 v128, 16, v127
.LBB0_19:
	s_or_b32 exec_lo, exec_lo, s1
	s_waitcnt lgkmcnt(8)
	v_pk_add_f16 v59, v53, v59 neg_lo:[0,1] neg_hi:[0,1]
	v_pk_add_f16 v129, v54, v60 neg_lo:[0,1] neg_hi:[0,1]
	s_waitcnt lgkmcnt(6)
	v_pk_add_f16 v61, v51, v61 neg_lo:[0,1] neg_hi:[0,1]
	v_pk_add_f16 v131, v52, v62 neg_lo:[0,1] neg_hi:[0,1]
	;; [unrolled: 3-line block ×3, first 2 shown]
	v_sub_f16_e32 v110, v123, v127
	v_sub_f16_e32 v121, v124, v128
	s_waitcnt lgkmcnt(0)
	v_pk_add_f16 v134, v46, v58 neg_lo:[0,1] neg_hi:[0,1]
	v_pk_fma_f16 v58, v53, 2.0, v59 op_sel_hi:[1,0,1] neg_lo:[0,0,1] neg_hi:[0,0,1]
	v_pk_add_f16 v55, v47, v55 neg_lo:[0,1] neg_hi:[0,1]
	v_pk_fma_f16 v128, v54, 2.0, v129 op_sel_hi:[1,0,1] neg_lo:[0,0,1] neg_hi:[0,0,1]
	v_pk_add_f16 v132, v48, v56 neg_lo:[0,1] neg_hi:[0,1]
	v_pk_fma_f16 v60, v51, 2.0, v61 op_sel_hi:[1,0,1] neg_lo:[0,0,1] neg_hi:[0,0,1]
	v_pk_add_f16 v57, v45, v57 neg_lo:[0,1] neg_hi:[0,1]
	v_pk_fma_f16 v130, v52, 2.0, v131 op_sel_hi:[1,0,1] neg_lo:[0,0,1] neg_hi:[0,0,1]
	v_pk_fma_f16 v62, v49, 2.0, v63 op_sel_hi:[1,0,1] neg_lo:[0,0,1] neg_hi:[0,0,1]
	v_fma_f16 v108, v123, 2.0, -v110
	v_fma_f16 v109, v124, 2.0, -v121
	s_barrier
	buffer_gl0_inv
	ds_write_b64 v89, v[58:59]
	ds_write_b64 v90, v[128:129]
	;; [unrolled: 1-line block ×5, first 2 shown]
	v_pk_fma_f16 v63, v50, 2.0, v64 op_sel_hi:[1,0,1] neg_lo:[0,0,1] neg_hi:[0,0,1]
	v_pk_fma_f16 v54, v47, 2.0, v55 op_sel_hi:[1,0,1] neg_lo:[0,0,1] neg_hi:[0,0,1]
	;; [unrolled: 1-line block ×5, first 2 shown]
	ds_write_b64 v92, v[63:64]
	ds_write_b64 v95, v[54:55]
	;; [unrolled: 1-line block ×5, first 2 shown]
	s_and_saveexec_b32 s1, vcc_lo
	s_cbranch_execz .LBB0_21
; %bb.20:
	v_perm_b32 v46, v121, v110, 0x5040100
	v_perm_b32 v45, v109, v108, 0x5040100
	ds_write_b64 v97, v[45:46]
.LBB0_21:
	s_or_b32 exec_lo, exec_lo, s1
	v_add_nc_u32_e32 v46, 0x800, v65
	v_add_nc_u32_e32 v45, 0x400, v65
	;; [unrolled: 1-line block ×4, first 2 shown]
	s_waitcnt lgkmcnt(0)
	s_barrier
	buffer_gl0_inv
	ds_read2_b32 v[53:54], v65 offset1:44
	ds_read2_b32 v[63:64], v45 offset0:206 offset1:250
	ds_read2_b32 v[51:52], v65 offset0:88 offset1:132
	;; [unrolled: 1-line block ×9, first 2 shown]
	s_and_saveexec_b32 s1, vcc_lo
	s_cbranch_execz .LBB0_23
; %bb.22:
	ds_read_b32 v108, v65 offset:1760
	ds_read_b32 v110, v65 offset:3608
	s_waitcnt lgkmcnt(1)
	v_lshrrev_b32_e32 v109, 16, v108
	s_waitcnt lgkmcnt(0)
	v_lshrrev_b32_e32 v121, 16, v110
.LBB0_23:
	s_or_b32 exec_lo, exec_lo, s1
	s_waitcnt lgkmcnt(8)
	v_lshrrev_b32_e32 v90, 16, v63
	v_lshrrev_b32_e32 v92, 16, v64
	s_waitcnt lgkmcnt(6)
	v_lshrrev_b32_e32 v95, 16, v59
	v_lshrrev_b32_e32 v97, 16, v60
	v_mul_f16_sdwa v133, v88, v63 dst_sel:DWORD dst_unused:UNUSED_PAD src0_sel:WORD_1 src1_sel:DWORD
	v_mul_f16_sdwa v131, v88, v90 dst_sel:DWORD dst_unused:UNUSED_PAD src0_sel:WORD_1 src1_sel:DWORD
	s_waitcnt lgkmcnt(4)
	v_lshrrev_b32_e32 v125, 16, v62
	v_mul_f16_sdwa v136, v88, v95 dst_sel:DWORD dst_unused:UNUSED_PAD src0_sel:WORD_1 src1_sel:DWORD
	v_mul_f16_sdwa v137, v88, v59 dst_sel:DWORD dst_unused:UNUSED_PAD src0_sel:WORD_1 src1_sel:DWORD
	v_lshrrev_b32_e32 v123, 16, v61
	v_fmac_f16_e32 v131, v88, v63
	v_mul_f16_sdwa v63, v88, v92 dst_sel:DWORD dst_unused:UNUSED_PAD src0_sel:WORD_1 src1_sel:DWORD
	v_fma_f16 v90, v88, v90, -v133
	v_mul_f16_sdwa v133, v88, v64 dst_sel:DWORD dst_unused:UNUSED_PAD src0_sel:WORD_1 src1_sel:DWORD
	s_waitcnt lgkmcnt(2)
	v_lshrrev_b32_e32 v127, 16, v57
	v_fmac_f16_e32 v136, v88, v59
	v_fmac_f16_e32 v63, v88, v64
	v_mul_f16_sdwa v64, v88, v97 dst_sel:DWORD dst_unused:UNUSED_PAD src0_sel:WORD_1 src1_sel:DWORD
	v_fma_f16 v59, v88, v95, -v137
	v_mul_f16_sdwa v95, v88, v60 dst_sel:DWORD dst_unused:UNUSED_PAD src0_sel:WORD_1 src1_sel:DWORD
	v_mul_f16_sdwa v137, v88, v125 dst_sel:DWORD dst_unused:UNUSED_PAD src0_sel:WORD_1 src1_sel:DWORD
	v_fma_f16 v92, v88, v92, -v133
	v_fmac_f16_e32 v64, v88, v60
	v_mul_f16_sdwa v60, v88, v123 dst_sel:DWORD dst_unused:UNUSED_PAD src0_sel:WORD_1 src1_sel:DWORD
	v_mul_f16_sdwa v133, v88, v61 dst_sel:DWORD dst_unused:UNUSED_PAD src0_sel:WORD_1 src1_sel:DWORD
	v_lshrrev_b32_e32 v129, 16, v58
	s_waitcnt lgkmcnt(0)
	v_lshrrev_b32_e32 v132, 16, v55
	v_fma_f16 v95, v88, v97, -v95
	v_mul_f16_sdwa v97, v88, v62 dst_sel:DWORD dst_unused:UNUSED_PAD src0_sel:WORD_1 src1_sel:DWORD
	v_fmac_f16_e32 v137, v88, v62
	v_mul_f16_sdwa v62, v88, v127 dst_sel:DWORD dst_unused:UNUSED_PAD src0_sel:WORD_1 src1_sel:DWORD
	v_fmac_f16_e32 v60, v88, v61
	v_fma_f16 v61, v88, v123, -v133
	v_mul_f16_sdwa v123, v88, v57 dst_sel:DWORD dst_unused:UNUSED_PAD src0_sel:WORD_1 src1_sel:DWORD
	v_lshrrev_b32_e32 v135, 16, v56
	v_fma_f16 v97, v88, v125, -v97
	v_mul_f16_sdwa v125, v88, v129 dst_sel:DWORD dst_unused:UNUSED_PAD src0_sel:WORD_1 src1_sel:DWORD
	v_mul_f16_sdwa v133, v88, v58 dst_sel:DWORD dst_unused:UNUSED_PAD src0_sel:WORD_1 src1_sel:DWORD
	v_fmac_f16_e32 v62, v88, v57
	v_mul_f16_sdwa v57, v88, v132 dst_sel:DWORD dst_unused:UNUSED_PAD src0_sel:WORD_1 src1_sel:DWORD
	v_fma_f16 v123, v88, v127, -v123
	v_mul_f16_sdwa v127, v88, v55 dst_sel:DWORD dst_unused:UNUSED_PAD src0_sel:WORD_1 src1_sel:DWORD
	v_lshrrev_b32_e32 v89, 16, v53
	v_fmac_f16_e32 v125, v88, v58
	v_fma_f16 v58, v88, v129, -v133
	v_fmac_f16_e32 v57, v88, v55
	v_mul_f16_sdwa v55, v88, v135 dst_sel:DWORD dst_unused:UNUSED_PAD src0_sel:WORD_1 src1_sel:DWORD
	v_mul_f16_sdwa v133, v88, v121 dst_sel:DWORD dst_unused:UNUSED_PAD src0_sel:WORD_1 src1_sel:DWORD
	v_lshrrev_b32_e32 v91, 16, v54
	v_lshrrev_b32_e32 v94, 16, v51
	v_mul_f16_sdwa v129, v88, v56 dst_sel:DWORD dst_unused:UNUSED_PAD src0_sel:WORD_1 src1_sel:DWORD
	v_fma_f16 v127, v88, v132, -v127
	v_mul_f16_sdwa v132, v88, v110 dst_sel:DWORD dst_unused:UNUSED_PAD src0_sel:WORD_1 src1_sel:DWORD
	v_lshrrev_b32_e32 v96, 16, v52
	v_lshrrev_b32_e32 v122, 16, v49
	;; [unrolled: 1-line block ×3, first 2 shown]
	v_fmac_f16_e32 v55, v88, v56
	v_fmac_f16_e32 v133, v88, v110
	v_sub_f16_e32 v110, v53, v131
	v_sub_f16_e32 v90, v89, v90
	v_lshrrev_b32_e32 v126, 16, v47
	v_sub_f16_e32 v63, v54, v63
	v_sub_f16_e32 v92, v91, v92
	v_lshrrev_b32_e32 v128, 16, v48
	v_fma_f16 v56, v88, v135, -v129
	v_fma_f16 v88, v88, v121, -v132
	v_sub_f16_e32 v121, v51, v136
	v_sub_f16_e32 v59, v94, v59
	v_lshrrev_b32_e32 v130, 16, v45
	v_sub_f16_e32 v64, v52, v64
	v_sub_f16_e32 v95, v96, v95
	v_lshrrev_b32_e32 v134, 16, v46
	v_sub_f16_e32 v60, v49, v60
	v_sub_f16_e32 v61, v122, v61
	v_fma_f16 v53, v53, 2.0, -v110
	v_fma_f16 v89, v89, 2.0, -v90
	v_sub_f16_e32 v129, v50, v137
	v_sub_f16_e32 v97, v124, v97
	;; [unrolled: 1-line block ×3, first 2 shown]
	v_fma_f16 v54, v54, 2.0, -v63
	v_fma_f16 v91, v91, 2.0, -v92
	v_sub_f16_e32 v62, v47, v62
	v_sub_f16_e32 v123, v126, v123
	v_fma_f16 v51, v51, 2.0, -v121
	v_fma_f16 v94, v94, 2.0, -v59
	v_sub_f16_e32 v125, v48, v125
	v_sub_f16_e32 v58, v128, v58
	;; [unrolled: 4-line block ×3, first 2 shown]
	v_fma_f16 v49, v49, 2.0, -v60
	v_fma_f16 v122, v122, 2.0, -v61
	v_sub_f16_e32 v56, v134, v56
	v_fma_f16 v50, v50, 2.0, -v129
	v_fma_f16 v124, v124, 2.0, -v97
	;; [unrolled: 1-line block ×3, first 2 shown]
	v_sub_f16_e32 v46, v109, v88
	v_pack_b32_f16 v53, v53, v89
	v_pack_b32_f16 v88, v110, v90
	v_fma_f16 v47, v47, 2.0, -v62
	v_fma_f16 v126, v126, 2.0, -v123
	v_pack_b32_f16 v54, v54, v91
	v_pack_b32_f16 v63, v63, v92
	v_fma_f16 v48, v48, 2.0, -v125
	v_fma_f16 v128, v128, 2.0, -v58
	;; [unrolled: 4-line block ×3, first 2 shown]
	v_pack_b32_f16 v52, v52, v96
	v_pack_b32_f16 v64, v64, v95
	v_fma_f16 v134, v134, 2.0, -v56
	v_pack_b32_f16 v49, v49, v122
	v_pack_b32_f16 v60, v60, v61
	v_sub_f16_e32 v45, v108, v133
	s_barrier
	buffer_gl0_inv
	ds_write2_b32 v103, v53, v88 offset1:2
	ds_write2_b32 v104, v54, v63 offset1:2
	;; [unrolled: 1-line block ×5, first 2 shown]
	v_pack_b32_f16 v49, v50, v124
	v_pack_b32_f16 v50, v129, v97
	;; [unrolled: 1-line block ×10, first 2 shown]
	ds_write2_b32 v98, v49, v50 offset1:2
	ds_write2_b32 v99, v47, v51 offset1:2
	;; [unrolled: 1-line block ×5, first 2 shown]
	s_and_saveexec_b32 s1, vcc_lo
	s_cbranch_execz .LBB0_25
; %bb.24:
	v_fma_f16 v47, v108, 2.0, -v45
	v_and_or_b32 v48, 0x3fc, v93, v87
	v_fma_f16 v49, v109, 2.0, -v46
	v_lshlrev_b32_e32 v48, 2, v48
	v_pack_b32_f16 v47, v47, v49
	v_perm_b32 v49, v46, v45, 0x5040100
	ds_write2_b32 v48, v47, v49 offset1:2
.LBB0_25:
	s_or_b32 exec_lo, exec_lo, s1
	v_add_nc_u32_e32 v47, 0x400, v65
	v_add_nc_u32_e32 v48, 0x800, v65
	s_waitcnt lgkmcnt(0)
	s_barrier
	buffer_gl0_inv
	ds_read2_b32 v[49:50], v65 offset1:44
	ds_read2_b32 v[51:52], v65 offset0:88 offset1:132
	ds_read2_b32 v[53:54], v47 offset0:8 offset1:52
	;; [unrolled: 1-line block ×5, first 2 shown]
	v_add_nc_u32_e32 v91, 0xc00, v65
	ds_read2_b32 v[61:62], v47 offset0:184 offset1:228
	ds_read2_b32 v[63:64], v65 offset0:176 offset1:220
	;; [unrolled: 1-line block ×4, first 2 shown]
	ds_read_b32 v92, v65 offset:3520
	s_waitcnt lgkmcnt(0)
	s_barrier
	buffer_gl0_inv
	v_lshrrev_b32_e32 v93, 16, v49
	v_lshrrev_b32_e32 v94, 16, v50
	v_lshrrev_b32_e32 v96, 16, v54
	v_lshrrev_b32_e32 v97, 16, v55
	v_lshrrev_b32_e32 v98, 16, v57
	v_mul_f16_sdwa v124, v33, v54 dst_sel:DWORD dst_unused:UNUSED_PAD src0_sel:WORD_1 src1_sel:DWORD
	v_lshrrev_b32_e32 v99, 16, v56
	v_mul_f16_sdwa v122, v33, v96 dst_sel:DWORD dst_unused:UNUSED_PAD src0_sel:WORD_1 src1_sel:DWORD
	v_mul_f16_sdwa v126, v34, v97 dst_sel:DWORD dst_unused:UNUSED_PAD src0_sel:WORD_1 src1_sel:DWORD
	v_lshrrev_b32_e32 v100, 16, v58
	v_fma_f16 v96, v33, v96, -v124
	v_mul_f16_sdwa v124, v33, v98 dst_sel:DWORD dst_unused:UNUSED_PAD src0_sel:WORD_1 src1_sel:DWORD
	v_fmac_f16_e32 v122, v33, v54
	v_mul_f16_sdwa v54, v34, v55 dst_sel:DWORD dst_unused:UNUSED_PAD src0_sel:WORD_1 src1_sel:DWORD
	v_lshrrev_b32_e32 v101, 16, v59
	v_fmac_f16_e32 v126, v34, v55
	v_mul_f16_sdwa v55, v33, v57 dst_sel:DWORD dst_unused:UNUSED_PAD src0_sel:WORD_1 src1_sel:DWORD
	v_fmac_f16_e32 v124, v33, v57
	v_fma_f16 v54, v34, v97, -v54
	v_mul_f16_sdwa v97, v34, v99 dst_sel:DWORD dst_unused:UNUSED_PAD src0_sel:WORD_1 src1_sel:DWORD
	v_mul_f16_sdwa v57, v34, v56 dst_sel:DWORD dst_unused:UNUSED_PAD src0_sel:WORD_1 src1_sel:DWORD
	v_lshrrev_b32_e32 v103, 16, v61
	v_fma_f16 v55, v33, v98, -v55
	v_mul_f16_sdwa v98, v33, v100 dst_sel:DWORD dst_unused:UNUSED_PAD src0_sel:WORD_1 src1_sel:DWORD
	v_fmac_f16_e32 v97, v34, v56
	v_mul_f16_sdwa v56, v33, v58 dst_sel:DWORD dst_unused:UNUSED_PAD src0_sel:WORD_1 src1_sel:DWORD
	v_fma_f16 v57, v34, v99, -v57
	v_mul_f16_sdwa v99, v34, v101 dst_sel:DWORD dst_unused:UNUSED_PAD src0_sel:WORD_1 src1_sel:DWORD
	v_lshrrev_b32_e32 v104, 16, v60
	v_lshrrev_b32_e32 v106, 16, v62
	v_fmac_f16_e32 v98, v33, v58
	v_mul_f16_sdwa v58, v34, v59 dst_sel:DWORD dst_unused:UNUSED_PAD src0_sel:WORD_1 src1_sel:DWORD
	v_fma_f16 v56, v33, v100, -v56
	v_mul_f16_sdwa v100, v33, v103 dst_sel:DWORD dst_unused:UNUSED_PAD src0_sel:WORD_1 src1_sel:DWORD
	v_fmac_f16_e32 v99, v34, v59
	v_mul_f16_sdwa v59, v33, v61 dst_sel:DWORD dst_unused:UNUSED_PAD src0_sel:WORD_1 src1_sel:DWORD
	v_lshrrev_b32_e32 v107, 16, v87
	v_fma_f16 v58, v34, v101, -v58
	v_mul_f16_sdwa v101, v34, v104 dst_sel:DWORD dst_unused:UNUSED_PAD src0_sel:WORD_1 src1_sel:DWORD
	v_fmac_f16_e32 v100, v33, v61
	v_mul_f16_sdwa v61, v34, v60 dst_sel:DWORD dst_unused:UNUSED_PAD src0_sel:WORD_1 src1_sel:DWORD
	v_fma_f16 v59, v33, v103, -v59
	v_mul_f16_sdwa v103, v33, v106 dst_sel:DWORD dst_unused:UNUSED_PAD src0_sel:WORD_1 src1_sel:DWORD
	v_lshrrev_b32_e32 v109, 16, v89
	v_lshrrev_b32_e32 v110, 16, v88
	v_fmac_f16_e32 v101, v34, v60
	v_mul_f16_sdwa v60, v33, v62 dst_sel:DWORD dst_unused:UNUSED_PAD src0_sel:WORD_1 src1_sel:DWORD
	v_fma_f16 v61, v34, v104, -v61
	v_mul_f16_sdwa v104, v34, v107 dst_sel:DWORD dst_unused:UNUSED_PAD src0_sel:WORD_1 src1_sel:DWORD
	v_fmac_f16_e32 v103, v33, v62
	v_mul_f16_sdwa v62, v34, v87 dst_sel:DWORD dst_unused:UNUSED_PAD src0_sel:WORD_1 src1_sel:DWORD
	v_lshrrev_b32_e32 v123, 16, v90
	v_fma_f16 v60, v33, v106, -v60
	v_mul_f16_sdwa v106, v33, v109 dst_sel:DWORD dst_unused:UNUSED_PAD src0_sel:WORD_1 src1_sel:DWORD
	v_fmac_f16_e32 v104, v34, v87
	v_mul_f16_sdwa v87, v33, v89 dst_sel:DWORD dst_unused:UNUSED_PAD src0_sel:WORD_1 src1_sel:DWORD
	v_fma_f16 v62, v34, v107, -v62
	v_mul_f16_sdwa v107, v34, v110 dst_sel:DWORD dst_unused:UNUSED_PAD src0_sel:WORD_1 src1_sel:DWORD
	v_lshrrev_b32_e32 v125, 16, v92
	v_fmac_f16_e32 v106, v33, v89
	v_mul_f16_sdwa v89, v34, v88 dst_sel:DWORD dst_unused:UNUSED_PAD src0_sel:WORD_1 src1_sel:DWORD
	v_fma_f16 v87, v33, v109, -v87
	v_mul_f16_sdwa v109, v33, v123 dst_sel:DWORD dst_unused:UNUSED_PAD src0_sel:WORD_1 src1_sel:DWORD
	v_fmac_f16_e32 v107, v34, v88
	v_mul_f16_sdwa v88, v33, v90 dst_sel:DWORD dst_unused:UNUSED_PAD src0_sel:WORD_1 src1_sel:DWORD
	v_fma_f16 v89, v34, v110, -v89
	v_mul_f16_sdwa v110, v34, v125 dst_sel:DWORD dst_unused:UNUSED_PAD src0_sel:WORD_1 src1_sel:DWORD
	v_fmac_f16_e32 v109, v33, v90
	v_mul_f16_sdwa v90, v34, v92 dst_sel:DWORD dst_unused:UNUSED_PAD src0_sel:WORD_1 src1_sel:DWORD
	v_fma_f16 v33, v33, v123, -v88
	v_add_f16_e32 v88, v122, v126
	v_fmac_f16_e32 v110, v34, v92
	v_add_f16_e32 v92, v49, v122
	v_fma_f16 v34, v34, v125, -v90
	v_add_f16_e32 v90, v96, v54
	v_fma_f16 v49, -0.5, v88, v49
	v_sub_f16_e32 v88, v96, v54
	v_add_f16_e32 v96, v93, v96
	v_add_f16_e32 v123, v50, v124
	v_fmac_f16_e32 v93, -0.5, v90
	v_sub_f16_e32 v90, v122, v126
	v_fmamk_f16 v122, v88, 0xbaee, v49
	v_fmac_f16_e32 v49, 0x3aee, v88
	v_add_f16_e32 v88, v124, v97
	v_add_f16_e32 v54, v96, v54
	v_fmamk_f16 v96, v90, 0x3aee, v93
	v_fmac_f16_e32 v93, 0xbaee, v90
	v_add_f16_e32 v90, v55, v57
	v_fmac_f16_e32 v50, -0.5, v88
	v_sub_f16_e32 v88, v55, v57
	v_add_f16_e32 v55, v94, v55
	v_lshrrev_b32_e32 v95, 16, v51
	v_fmac_f16_e32 v94, -0.5, v90
	v_sub_f16_e32 v90, v124, v97
	v_add_f16_e32 v123, v123, v97
	v_add_f16_e32 v55, v55, v57
	;; [unrolled: 1-line block ×3, first 2 shown]
	v_fmamk_f16 v97, v88, 0xbaee, v50
	v_fmac_f16_e32 v50, 0x3aee, v88
	v_fmamk_f16 v88, v90, 0x3aee, v94
	v_add_f16_e32 v124, v51, v98
	v_fmac_f16_e32 v94, 0xbaee, v90
	v_add_f16_e32 v90, v56, v58
	v_fma_f16 v51, -0.5, v57, v51
	v_sub_f16_e32 v57, v56, v58
	v_lshrrev_b32_e32 v102, 16, v52
	v_add_f16_e32 v56, v95, v56
	v_fmac_f16_e32 v95, -0.5, v90
	v_sub_f16_e32 v90, v98, v99
	v_fmamk_f16 v98, v57, 0xbaee, v51
	v_fmac_f16_e32 v51, 0x3aee, v57
	v_add_f16_e32 v57, v100, v101
	v_add_f16_e32 v124, v124, v99
	;; [unrolled: 1-line block ×3, first 2 shown]
	v_fmamk_f16 v58, v90, 0x3aee, v95
	v_add_f16_e32 v99, v52, v100
	v_fmac_f16_e32 v95, 0xbaee, v90
	v_add_f16_e32 v90, v59, v61
	v_fmac_f16_e32 v52, -0.5, v57
	v_sub_f16_e32 v57, v59, v61
	v_add_f16_e32 v59, v102, v59
	v_lshrrev_b32_e32 v105, 16, v63
	v_fmac_f16_e32 v102, -0.5, v90
	v_sub_f16_e32 v90, v100, v101
	v_fmamk_f16 v100, v57, 0xbaee, v52
	v_fmac_f16_e32 v52, 0x3aee, v57
	v_add_f16_e32 v57, v59, v61
	v_add_f16_e32 v59, v103, v104
	;; [unrolled: 1-line block ×3, first 2 shown]
	v_fmamk_f16 v61, v90, 0x3aee, v102
	v_add_f16_e32 v101, v63, v103
	v_fmac_f16_e32 v102, 0xbaee, v90
	v_add_f16_e32 v90, v60, v62
	v_fma_f16 v59, -0.5, v59, v63
	v_sub_f16_e32 v63, v60, v62
	v_add_f16_e32 v60, v105, v60
	v_lshrrev_b32_e32 v108, 16, v64
	v_fmac_f16_e32 v105, -0.5, v90
	v_sub_f16_e32 v90, v103, v104
	v_add_f16_e32 v101, v101, v104
	v_add_f16_e32 v60, v60, v62
	;; [unrolled: 1-line block ×3, first 2 shown]
	v_fmamk_f16 v103, v63, 0xbaee, v59
	v_fmac_f16_e32 v59, 0x3aee, v63
	v_fmamk_f16 v63, v90, 0x3aee, v105
	v_add_f16_e32 v104, v64, v106
	v_fmac_f16_e32 v105, 0xbaee, v90
	v_add_f16_e32 v90, v87, v89
	v_fmac_f16_e32 v64, -0.5, v62
	v_sub_f16_e32 v62, v87, v89
	v_add_f16_e32 v87, v108, v87
	v_lshrrev_b32_e32 v121, 16, v53
	v_fmac_f16_e32 v108, -0.5, v90
	v_sub_f16_e32 v90, v106, v107
	v_fmamk_f16 v106, v62, 0xbaee, v64
	v_fmac_f16_e32 v64, 0x3aee, v62
	v_add_f16_e32 v62, v87, v89
	v_add_f16_e32 v87, v109, v110
	;; [unrolled: 1-line block ×4, first 2 shown]
	v_fmamk_f16 v89, v90, 0x3aee, v108
	v_fmac_f16_e32 v108, 0xbaee, v90
	v_add_f16_e32 v90, v33, v34
	v_add_f16_e32 v107, v53, v109
	v_fmac_f16_e32 v53, -0.5, v87
	v_sub_f16_e32 v87, v33, v34
	v_add_f16_e32 v33, v121, v33
	v_fmac_f16_e32 v121, -0.5, v90
	v_sub_f16_e32 v90, v109, v110
	v_pack_b32_f16 v54, v92, v54
	v_fmamk_f16 v109, v87, 0xbaee, v53
	v_fmac_f16_e32 v53, 0x3aee, v87
	v_pack_b32_f16 v87, v122, v96
	v_pack_b32_f16 v49, v49, v93
	v_pack_b32_f16 v55, v123, v55
	v_pack_b32_f16 v88, v97, v88
	v_pack_b32_f16 v50, v50, v94
	ds_write2_b32 v117, v54, v87 offset1:4
	ds_write_b32 v117, v49 offset:32
	ds_write2_b32 v116, v55, v88 offset1:4
	ds_write_b32 v116, v50 offset:32
	v_pack_b32_f16 v49, v124, v56
	v_pack_b32_f16 v50, v98, v58
	;; [unrolled: 1-line block ×5, first 2 shown]
	v_add_f16_e32 v107, v107, v110
	v_add_f16_e32 v33, v33, v34
	v_fmamk_f16 v34, v90, 0x3aee, v121
	v_pack_b32_f16 v52, v52, v102
	v_fmac_f16_e32 v121, 0xbaee, v90
	v_pack_b32_f16 v56, v101, v60
	v_pack_b32_f16 v57, v103, v63
	ds_write2_b32 v115, v49, v50 offset1:4
	ds_write_b32 v115, v51 offset:32
	ds_write2_b32 v114, v54, v55 offset1:4
	ds_write_b32 v114, v52 offset:32
	ds_write2_b32 v113, v56, v57 offset1:4
	v_pack_b32_f16 v49, v59, v105
	v_pack_b32_f16 v50, v104, v62
	v_pack_b32_f16 v51, v106, v89
	v_pack_b32_f16 v52, v64, v108
	v_pack_b32_f16 v33, v107, v33
	v_pack_b32_f16 v34, v109, v34
	v_pack_b32_f16 v53, v53, v121
	ds_write_b32 v113, v49 offset:32
	ds_write2_b32 v112, v50, v51 offset1:4
	ds_write_b32 v112, v52 offset:32
	ds_write2_b32 v111, v33, v34 offset1:4
	ds_write_b32 v111, v53 offset:32
	s_waitcnt lgkmcnt(0)
	s_barrier
	buffer_gl0_inv
	ds_read2_b32 v[33:34], v65 offset0:88 offset1:132
	ds_read2_b32 v[49:50], v47 offset0:8 offset1:52
	;; [unrolled: 1-line block ×9, first 2 shown]
	ds_read_b32 v89, v65 offset:3520
	ds_read2_b32 v[87:88], v65 offset1:44
	s_waitcnt lgkmcnt(0)
	s_barrier
	buffer_gl0_inv
	v_lshrrev_b32_e32 v90, 16, v34
	v_lshrrev_b32_e32 v91, 16, v49
	;; [unrolled: 1-line block ×5, first 2 shown]
	v_mul_f16_sdwa v104, v16, v90 dst_sel:DWORD dst_unused:UNUSED_PAD src0_sel:WORD_1 src1_sel:DWORD
	v_lshrrev_b32_e32 v95, 16, v57
	v_mul_f16_sdwa v109, v17, v91 dst_sel:DWORD dst_unused:UNUSED_PAD src0_sel:WORD_1 src1_sel:DWORD
	v_mul_f16_sdwa v110, v17, v49 dst_sel:DWORD dst_unused:UNUSED_PAD src0_sel:WORD_1 src1_sel:DWORD
	;; [unrolled: 1-line block ×3, first 2 shown]
	v_fmac_f16_e32 v104, v16, v34
	v_mul_f16_sdwa v34, v16, v34 dst_sel:DWORD dst_unused:UNUSED_PAD src0_sel:WORD_1 src1_sel:DWORD
	v_lshrrev_b32_e32 v96, 16, v59
	v_lshrrev_b32_e32 v97, 16, v50
	v_mul_f16_sdwa v112, v18, v52 dst_sel:DWORD dst_unused:UNUSED_PAD src0_sel:WORD_1 src1_sel:DWORD
	v_fmac_f16_e32 v109, v17, v49
	v_fma_f16 v16, v16, v90, -v34
	v_fma_f16 v17, v17, v91, -v110
	v_fmac_f16_e32 v111, v18, v52
	v_mul_f16_sdwa v34, v19, v93 dst_sel:DWORD dst_unused:UNUSED_PAD src0_sel:WORD_1 src1_sel:DWORD
	v_mul_f16_sdwa v49, v19, v53 dst_sel:DWORD dst_unused:UNUSED_PAD src0_sel:WORD_1 src1_sel:DWORD
	;; [unrolled: 1-line block ×5, first 2 shown]
	v_lshrrev_b32_e32 v98, 16, v61
	v_lshrrev_b32_e32 v99, 16, v54
	;; [unrolled: 1-line block ×3, first 2 shown]
	v_fmac_f16_e32 v34, v19, v53
	v_fma_f16 v19, v19, v93, -v49
	v_fmac_f16_e32 v52, v41, v56
	v_fma_f16 v41, v41, v94, -v90
	v_fmac_f16_e32 v91, v42, v57
	v_mul_f16_sdwa v49, v42, v57 dst_sel:DWORD dst_unused:UNUSED_PAD src0_sel:WORD_1 src1_sel:DWORD
	v_mul_f16_sdwa v53, v12, v96 dst_sel:DWORD dst_unused:UNUSED_PAD src0_sel:WORD_1 src1_sel:DWORD
	;; [unrolled: 1-line block ×5, first 2 shown]
	v_lshrrev_b32_e32 v101, 16, v58
	v_lshrrev_b32_e32 v102, 16, v60
	v_fma_f16 v42, v42, v95, -v49
	v_fmac_f16_e32 v53, v12, v59
	v_fma_f16 v12, v12, v96, -v56
	v_fmac_f16_e32 v57, v13, v50
	v_fma_f16 v13, v13, v97, -v90
	v_mul_f16_sdwa v49, v14, v98 dst_sel:DWORD dst_unused:UNUSED_PAD src0_sel:WORD_1 src1_sel:DWORD
	v_mul_f16_sdwa v50, v14, v61 dst_sel:DWORD dst_unused:UNUSED_PAD src0_sel:WORD_1 src1_sel:DWORD
	;; [unrolled: 1-line block ×4, first 2 shown]
	v_lshrrev_b32_e32 v103, 16, v51
	v_lshrrev_b32_e32 v106, 16, v55
	v_mul_f16_sdwa v59, v15, v54 dst_sel:DWORD dst_unused:UNUSED_PAD src0_sel:WORD_1 src1_sel:DWORD
	v_fmac_f16_e32 v49, v14, v61
	v_fma_f16 v14, v14, v98, -v50
	v_fmac_f16_e32 v56, v15, v54
	v_fmac_f16_e32 v90, v39, v63
	v_mul_f16_sdwa v50, v39, v63 dst_sel:DWORD dst_unused:UNUSED_PAD src0_sel:WORD_1 src1_sel:DWORD
	v_mul_f16_sdwa v54, v40, v101 dst_sel:DWORD dst_unused:UNUSED_PAD src0_sel:WORD_1 src1_sel:DWORD
	;; [unrolled: 1-line block ×4, first 2 shown]
	v_lshrrev_b32_e32 v105, 16, v62
	v_lshrrev_b32_e32 v107, 16, v64
	v_fma_f16 v15, v15, v99, -v59
	v_mul_f16_sdwa v59, v40, v58 dst_sel:DWORD dst_unused:UNUSED_PAD src0_sel:WORD_1 src1_sel:DWORD
	v_fma_f16 v39, v39, v100, -v50
	v_fmac_f16_e32 v54, v40, v58
	v_fmac_f16_e32 v61, v8, v60
	v_fma_f16 v50, v8, v102, -v63
	v_mul_f16_sdwa v58, v9, v103 dst_sel:DWORD dst_unused:UNUSED_PAD src0_sel:WORD_1 src1_sel:DWORD
	v_mul_f16_sdwa v8, v9, v51 dst_sel:DWORD dst_unused:UNUSED_PAD src0_sel:WORD_1 src1_sel:DWORD
	;; [unrolled: 1-line block ×3, first 2 shown]
	v_lshrrev_b32_e32 v108, 16, v89
	v_fma_f16 v18, v18, v92, -v112
	v_fma_f16 v40, v40, v101, -v59
	v_mul_f16_sdwa v59, v10, v105 dst_sel:DWORD dst_unused:UNUSED_PAD src0_sel:WORD_1 src1_sel:DWORD
	v_mul_f16_sdwa v60, v10, v62 dst_sel:DWORD dst_unused:UNUSED_PAD src0_sel:WORD_1 src1_sel:DWORD
	v_fmac_f16_e32 v58, v9, v51
	v_fma_f16 v92, v9, v103, -v8
	v_fmac_f16_e32 v63, v11, v55
	v_mul_f16_sdwa v8, v11, v55 dst_sel:DWORD dst_unused:UNUSED_PAD src0_sel:WORD_1 src1_sel:DWORD
	v_mul_f16_sdwa v55, v37, v107 dst_sel:DWORD dst_unused:UNUSED_PAD src0_sel:WORD_1 src1_sel:DWORD
	;; [unrolled: 1-line block ×3, first 2 shown]
	v_fmac_f16_e32 v59, v10, v62
	v_fma_f16 v60, v10, v105, -v60
	v_mul_f16_sdwa v62, v38, v108 dst_sel:DWORD dst_unused:UNUSED_PAD src0_sel:WORD_1 src1_sel:DWORD
	v_mul_f16_sdwa v10, v38, v89 dst_sel:DWORD dst_unused:UNUSED_PAD src0_sel:WORD_1 src1_sel:DWORD
	v_fma_f16 v11, v11, v106, -v8
	v_fmac_f16_e32 v55, v37, v64
	v_fma_f16 v37, v37, v107, -v9
	v_add_f16_e32 v8, v104, v91
	v_add_f16_e32 v9, v16, v42
	v_sub_f16_e32 v16, v16, v42
	v_add_f16_e32 v42, v109, v52
	v_add_f16_e32 v51, v17, v41
	v_fmac_f16_e32 v62, v38, v89
	v_fma_f16 v38, v38, v108, -v10
	v_sub_f16_e32 v10, v104, v91
	v_sub_f16_e32 v52, v109, v52
	;; [unrolled: 1-line block ×3, first 2 shown]
	v_add_f16_e32 v41, v111, v34
	v_add_f16_e32 v64, v18, v19
	v_sub_f16_e32 v34, v34, v111
	v_sub_f16_e32 v18, v19, v18
	v_add_f16_e32 v19, v42, v8
	v_add_f16_e32 v89, v51, v9
	v_sub_f16_e32 v91, v42, v8
	v_sub_f16_e32 v93, v51, v9
	;; [unrolled: 1-line block ×6, first 2 shown]
	v_add_f16_e32 v94, v34, v52
	v_add_f16_e32 v95, v18, v17
	v_sub_f16_e32 v96, v34, v52
	v_sub_f16_e32 v97, v18, v17
	;; [unrolled: 1-line block ×3, first 2 shown]
	v_add_f16_e32 v19, v41, v19
	v_add_f16_e32 v41, v64, v89
	v_sub_f16_e32 v17, v17, v16
	v_sub_f16_e32 v34, v10, v34
	;; [unrolled: 1-line block ×3, first 2 shown]
	v_add_f16_e32 v10, v94, v10
	v_add_f16_e32 v16, v95, v16
	;; [unrolled: 1-line block ×3, first 2 shown]
	v_add_f16_sdwa v87, v87, v41 dst_sel:DWORD dst_unused:UNUSED_PAD src0_sel:WORD_1 src1_sel:DWORD
	v_mul_f16_e32 v8, 0x3a52, v8
	v_mul_f16_e32 v9, 0x3a52, v9
	;; [unrolled: 1-line block ×8, first 2 shown]
	v_fmamk_f16 v19, v19, 0xbcab, v64
	v_fmamk_f16 v41, v41, 0xbcab, v87
	;; [unrolled: 1-line block ×4, first 2 shown]
	v_fma_f16 v89, v91, 0x39e0, -v89
	v_fma_f16 v94, v93, 0x39e0, -v94
	;; [unrolled: 1-line block ×4, first 2 shown]
	v_fmamk_f16 v91, v34, 0xb574, v95
	v_fmamk_f16 v93, v18, 0xb574, v96
	v_fma_f16 v17, v17, 0xbb00, -v96
	v_fma_f16 v34, v34, 0x3574, -v97
	v_fma_f16 v18, v18, 0x3574, -v98
	v_fma_f16 v52, v52, 0xbb00, -v95
	v_add_f16_e32 v89, v89, v19
	v_add_f16_e32 v8, v8, v19
	;; [unrolled: 1-line block ×3, first 2 shown]
	v_fmac_f16_e32 v18, 0xb70e, v16
	v_fmac_f16_e32 v34, 0xb70e, v10
	;; [unrolled: 1-line block ×3, first 2 shown]
	v_add_f16_e32 v51, v51, v41
	v_add_f16_e32 v94, v94, v41
	v_fmac_f16_e32 v91, 0xb70e, v10
	v_fmac_f16_e32 v93, 0xb70e, v16
	;; [unrolled: 1-line block ×3, first 2 shown]
	v_add_f16_e32 v95, v18, v8
	v_sub_f16_e32 v96, v9, v34
	v_sub_f16_e32 v97, v89, v17
	v_add_f16_e32 v89, v17, v89
	v_sub_f16_e32 v18, v8, v18
	v_add_f16_e32 v34, v34, v9
	v_add_f16_e32 v8, v53, v54
	;; [unrolled: 1-line block ×6, first 2 shown]
	v_sub_f16_e32 v41, v51, v91
	v_add_f16_e32 v98, v52, v94
	v_sub_f16_e32 v94, v94, v52
	v_add_f16_e32 v91, v91, v51
	v_sub_f16_e32 v12, v12, v40
	v_sub_f16_e32 v40, v57, v90
	;; [unrolled: 1-line block ×3, first 2 shown]
	v_add_f16_e32 v39, v49, v56
	v_add_f16_e32 v51, v14, v15
	v_sub_f16_e32 v49, v56, v49
	v_sub_f16_e32 v14, v15, v14
	v_add_f16_e32 v15, v16, v8
	v_add_f16_e32 v52, v17, v9
	;; [unrolled: 1-line block ×3, first 2 shown]
	v_sub_f16_e32 v42, v42, v93
	v_sub_f16_e32 v10, v53, v54
	;; [unrolled: 1-line block ×8, first 2 shown]
	v_add_f16_e32 v56, v49, v40
	v_add_f16_e32 v57, v14, v13
	v_sub_f16_e32 v90, v49, v40
	v_sub_f16_e32 v93, v14, v13
	v_add_f16_e32 v15, v39, v15
	v_add_f16_e32 v39, v51, v52
	v_sub_f16_e32 v49, v10, v49
	v_sub_f16_e32 v14, v12, v14
	;; [unrolled: 1-line block ×4, first 2 shown]
	v_add_f16_e32 v10, v56, v10
	v_add_f16_e32 v12, v57, v12
	;; [unrolled: 1-line block ×3, first 2 shown]
	v_add_f16_sdwa v88, v88, v39 dst_sel:DWORD dst_unused:UNUSED_PAD src0_sel:WORD_1 src1_sel:DWORD
	v_mul_f16_e32 v8, 0x3a52, v8
	v_mul_f16_e32 v9, 0x3a52, v9
	;; [unrolled: 1-line block ×8, first 2 shown]
	v_fmamk_f16 v15, v15, 0xbcab, v99
	v_fmamk_f16 v39, v39, 0xbcab, v88
	;; [unrolled: 1-line block ×4, first 2 shown]
	v_fma_f16 v51, v53, 0x39e0, -v51
	v_fma_f16 v52, v54, 0x39e0, -v52
	v_fma_f16 v8, v53, 0xb9e0, -v8
	v_fmamk_f16 v53, v49, 0xb574, v56
	v_fmamk_f16 v100, v14, 0xb574, v57
	v_fma_f16 v40, v40, 0xbb00, -v56
	v_fma_f16 v13, v13, 0xbb00, -v57
	;; [unrolled: 1-line block ×5, first 2 shown]
	v_add_f16_e32 v16, v16, v15
	v_add_f16_e32 v17, v17, v39
	v_add_f16_e32 v49, v51, v15
	v_add_f16_e32 v51, v52, v39
	v_fmac_f16_e32 v53, 0xb70e, v10
	v_fmac_f16_e32 v100, 0xb70e, v12
	;; [unrolled: 1-line block ×4, first 2 shown]
	v_add_f16_e32 v15, v8, v15
	v_add_f16_e32 v39, v9, v39
	v_fmac_f16_e32 v14, 0xb70e, v12
	v_fmac_f16_e32 v54, 0xb70e, v10
	v_add_f16_e32 v90, v100, v16
	v_sub_f16_e32 v93, v17, v53
	v_sub_f16_e32 v103, v49, v13
	v_add_f16_e32 v104, v40, v51
	v_add_f16_e32 v8, v13, v49
	v_sub_f16_e32 v49, v51, v40
	v_sub_f16_e32 v10, v16, v100
	v_add_f16_e32 v51, v53, v17
	v_add_f16_e32 v12, v61, v62
	;; [unrolled: 1-line block ×6, first 2 shown]
	v_sub_f16_e32 v102, v39, v54
	v_sub_f16_e32 v9, v15, v14
	v_add_f16_e32 v54, v54, v39
	v_sub_f16_e32 v15, v50, v38
	v_sub_f16_e32 v37, v92, v37
	v_add_f16_e32 v39, v59, v63
	v_add_f16_e32 v40, v60, v11
	v_sub_f16_e32 v11, v11, v60
	v_add_f16_e32 v52, v16, v12
	v_add_f16_e32 v53, v17, v13
	v_sub_f16_e32 v38, v58, v55
	v_sub_f16_e32 v50, v63, v59
	;; [unrolled: 1-line block ×9, first 2 shown]
	v_add_f16_e32 v58, v11, v37
	v_sub_f16_e32 v60, v11, v37
	v_add_f16_e32 v39, v39, v52
	v_add_f16_e32 v40, v40, v53
	v_sub_f16_e32 v37, v37, v15
	v_add_f16_e32 v57, v50, v38
	v_sub_f16_e32 v59, v50, v38
	v_sub_f16_e32 v61, v15, v11
	;; [unrolled: 1-line block ×3, first 2 shown]
	v_add_f16_e32 v15, v58, v15
	v_add_f16_e32 v11, v33, v39
	v_add_f16_sdwa v53, v33, v40 dst_sel:DWORD dst_unused:UNUSED_PAD src0_sel:WORD_1 src1_sel:DWORD
	v_mul_f16_e32 v12, 0x3a52, v12
	v_mul_f16_e32 v33, 0x2b26, v16
	;; [unrolled: 1-line block ×4, first 2 shown]
	v_sub_f16_e32 v50, v14, v50
	v_add_f16_e32 v14, v57, v14
	v_mul_f16_e32 v13, 0x3a52, v13
	v_mul_f16_e32 v52, 0x2b26, v17
	;; [unrolled: 1-line block ×4, first 2 shown]
	v_fmamk_f16 v39, v39, 0xbcab, v11
	v_fmamk_f16 v16, v16, 0x2b26, v12
	v_fma_f16 v33, v55, 0x39e0, -v33
	v_fma_f16 v12, v55, 0xb9e0, -v12
	v_fmamk_f16 v63, v61, 0xb574, v58
	v_fma_f16 v37, v37, 0xbb00, -v58
	v_fma_f16 v58, v61, 0x3574, -v60
	v_fmamk_f16 v40, v40, 0xbcab, v53
	v_fmamk_f16 v17, v17, 0x2b26, v13
	v_fma_f16 v52, v56, 0x39e0, -v52
	v_fma_f16 v38, v38, 0xbb00, -v57
	;; [unrolled: 1-line block ×3, first 2 shown]
	v_fmamk_f16 v62, v50, 0xb574, v57
	v_fma_f16 v57, v50, 0x3574, -v59
	v_add_f16_e32 v59, v16, v39
	v_add_f16_e32 v16, v33, v39
	;; [unrolled: 1-line block ×3, first 2 shown]
	v_fmac_f16_e32 v58, 0xb70e, v15
	v_fmac_f16_e32 v37, 0xb70e, v15
	v_add_f16_e32 v60, v17, v40
	v_add_f16_e32 v17, v52, v40
	v_fmac_f16_e32 v38, 0xb70e, v14
	v_add_f16_e32 v39, v13, v40
	v_fmac_f16_e32 v62, 0xb70e, v14
	v_fmac_f16_e32 v63, 0xb70e, v15
	;; [unrolled: 1-line block ×3, first 2 shown]
	v_add_f16_e32 v13, v58, v33
	v_sub_f16_e32 v14, v16, v37
	v_add_f16_e32 v15, v37, v16
	v_sub_f16_e32 v16, v33, v58
	v_pack_b32_f16 v33, v64, v87
	v_pack_b32_f16 v19, v19, v41
	v_add_f16_e32 v52, v38, v17
	v_sub_f16_e32 v56, v17, v38
	v_pack_b32_f16 v37, v95, v96
	v_pack_b32_f16 v38, v97, v98
	ds_write2_b32 v120, v33, v19 offset1:12
	ds_write2_b32 v120, v37, v38 offset0:24 offset1:36
	v_pack_b32_f16 v19, v89, v94
	v_pack_b32_f16 v18, v18, v34
	v_add_f16_e32 v12, v63, v59
	v_sub_f16_e32 v55, v60, v62
	v_pack_b32_f16 v33, v42, v91
	v_sub_f16_e32 v50, v39, v57
	v_pack_b32_f16 v34, v99, v88
	v_pack_b32_f16 v37, v90, v93
	v_add_f16_e32 v57, v57, v39
	v_pack_b32_f16 v38, v101, v102
	v_pack_b32_f16 v39, v103, v104
	v_sub_f16_e32 v17, v59, v63
	v_add_f16_e32 v58, v62, v60
	v_pack_b32_f16 v40, v8, v49
	v_pack_b32_f16 v41, v9, v54
	ds_write2_b32 v120, v19, v18 offset0:48 offset1:60
	ds_write_b32 v120, v33 offset:288
	ds_write2_b32 v119, v34, v37 offset1:12
	ds_write2_b32 v119, v38, v39 offset0:24 offset1:36
	ds_write2_b32 v119, v40, v41 offset0:48 offset1:60
	v_pack_b32_f16 v18, v10, v51
	v_pack_b32_f16 v19, v11, v53
	;; [unrolled: 1-line block ×7, first 2 shown]
	v_add_nc_u32_e32 v59, 0x600, v65
	v_pack_b32_f16 v40, v17, v58
	ds_write_b32 v119, v18 offset:288
	ds_write2_b32 v118, v19, v33 offset1:12
	ds_write2_b32 v118, v34, v37 offset0:24 offset1:36
	ds_write2_b32 v118, v38, v39 offset0:48 offset1:60
	ds_write_b32 v118, v40 offset:288
	s_waitcnt lgkmcnt(0)
	s_barrier
	buffer_gl0_inv
	ds_read2_b32 v[18:19], v65 offset1:84
	ds_read2_b32 v[41:42], v65 offset0:168 offset1:252
	ds_read2_b32 v[39:40], v47 offset0:80 offset1:164
	;; [unrolled: 1-line block ×4, first 2 shown]
	ds_read_b32 v60, v65 offset:3360
	s_and_saveexec_b32 s1, s0
	s_cbranch_execz .LBB0_27
; %bb.26:
	v_add_nc_u32_e32 v10, 0x200, v65
	v_add_nc_u32_e32 v16, 0xa00, v65
	ds_read2_b32 v[8:9], v65 offset0:44 offset1:128
	ds_read2_b32 v[12:13], v47 offset0:124 offset1:208
	;; [unrolled: 1-line block ×5, first 2 shown]
	ds_read_b32 v45, v65 offset:3536
	s_waitcnt lgkmcnt(3)
	v_lshrrev_b32_e32 v52, 16, v14
	v_lshrrev_b32_e32 v49, 16, v8
	v_lshrrev_b32_e32 v54, 16, v9
	v_lshrrev_b32_e32 v55, 16, v12
	v_lshrrev_b32_e32 v50, 16, v13
	v_lshrrev_b32_e32 v56, 16, v15
	s_waitcnt lgkmcnt(2)
	v_lshrrev_b32_e32 v51, 16, v10
	v_lshrrev_b32_e32 v53, 16, v11
	s_waitcnt lgkmcnt(1)
	v_lshrrev_b32_e32 v57, 16, v16
	v_lshrrev_b32_e32 v58, 16, v17
	s_waitcnt lgkmcnt(0)
	v_lshrrev_b32_e32 v46, 16, v45
.LBB0_27:
	s_or_b32 exec_lo, exec_lo, s1
	s_waitcnt lgkmcnt(5)
	v_lshrrev_b32_e32 v61, 16, v19
	s_waitcnt lgkmcnt(4)
	v_lshrrev_b32_e32 v62, 16, v41
	v_mul_f16_sdwa v92, v24, v19 dst_sel:DWORD dst_unused:UNUSED_PAD src0_sel:WORD_1 src1_sel:DWORD
	s_waitcnt lgkmcnt(3)
	v_lshrrev_b32_e32 v64, 16, v39
	v_lshrrev_b32_e32 v63, 16, v42
	v_mul_f16_sdwa v91, v24, v61 dst_sel:DWORD dst_unused:UNUSED_PAD src0_sel:WORD_1 src1_sel:DWORD
	v_mul_f16_sdwa v94, v25, v62 dst_sel:DWORD dst_unused:UNUSED_PAD src0_sel:WORD_1 src1_sel:DWORD
	v_lshrrev_b32_e32 v87, 16, v40
	s_waitcnt lgkmcnt(2)
	v_lshrrev_b32_e32 v88, 16, v37
	v_lshrrev_b32_e32 v89, 16, v38
	v_fmac_f16_e32 v91, v24, v19
	v_fma_f16 v19, v24, v61, -v92
	v_mul_f16_sdwa v24, v25, v41 dst_sel:DWORD dst_unused:UNUSED_PAD src0_sel:WORD_1 src1_sel:DWORD
	v_fmac_f16_e32 v94, v25, v41
	v_mul_f16_sdwa v92, v27, v64 dst_sel:DWORD dst_unused:UNUSED_PAD src0_sel:WORD_1 src1_sel:DWORD
	v_mul_f16_sdwa v41, v26, v63 dst_sel:DWORD dst_unused:UNUSED_PAD src0_sel:WORD_1 src1_sel:DWORD
	;; [unrolled: 1-line block ×3, first 2 shown]
	v_fma_f16 v24, v25, v62, -v24
	v_mul_f16_sdwa v25, v27, v39 dst_sel:DWORD dst_unused:UNUSED_PAD src0_sel:WORD_1 src1_sel:DWORD
	v_fmac_f16_e32 v92, v27, v39
	v_mul_f16_sdwa v39, v20, v87 dst_sel:DWORD dst_unused:UNUSED_PAD src0_sel:WORD_1 src1_sel:DWORD
	v_fmac_f16_e32 v41, v26, v42
	v_fma_f16 v26, v26, v63, -v61
	v_fma_f16 v25, v27, v64, -v25
	v_add_f16_e32 v27, v18, v91
	v_mul_f16_sdwa v42, v20, v40 dst_sel:DWORD dst_unused:UNUSED_PAD src0_sel:WORD_1 src1_sel:DWORD
	v_mul_f16_sdwa v61, v21, v88 dst_sel:DWORD dst_unused:UNUSED_PAD src0_sel:WORD_1 src1_sel:DWORD
	v_fmac_f16_e32 v39, v20, v40
	v_add_f16_sdwa v40, v18, v19 dst_sel:DWORD dst_unused:UNUSED_PAD src0_sel:WORD_1 src1_sel:DWORD
	v_add_f16_e32 v27, v27, v94
	s_waitcnt lgkmcnt(1)
	v_lshrrev_b32_e32 v90, 16, v33
	v_fmac_f16_e32 v61, v21, v37
	v_mul_f16_sdwa v37, v21, v37 dst_sel:DWORD dst_unused:UNUSED_PAD src0_sel:WORD_1 src1_sel:DWORD
	v_add_f16_e32 v40, v40, v24
	v_add_f16_e32 v27, v27, v41
	v_fma_f16 v20, v20, v87, -v42
	v_mul_f16_sdwa v42, v22, v89 dst_sel:DWORD dst_unused:UNUSED_PAD src0_sel:WORD_1 src1_sel:DWORD
	v_fma_f16 v21, v21, v88, -v37
	v_add_f16_e32 v37, v40, v26
	v_add_f16_e32 v27, v27, v92
	v_lshrrev_b32_e32 v93, 16, v34
	v_mul_f16_sdwa v62, v22, v38 dst_sel:DWORD dst_unused:UNUSED_PAD src0_sel:WORD_1 src1_sel:DWORD
	v_fmac_f16_e32 v42, v22, v38
	v_mul_f16_sdwa v38, v23, v90 dst_sel:DWORD dst_unused:UNUSED_PAD src0_sel:WORD_1 src1_sel:DWORD
	v_add_f16_e32 v37, v37, v25
	v_add_f16_e32 v27, v27, v39
	s_waitcnt lgkmcnt(0)
	v_lshrrev_b32_e32 v95, 16, v60
	v_fma_f16 v22, v22, v89, -v62
	v_mul_f16_sdwa v40, v23, v33 dst_sel:DWORD dst_unused:UNUSED_PAD src0_sel:WORD_1 src1_sel:DWORD
	v_mul_f16_sdwa v62, v43, v93 dst_sel:DWORD dst_unused:UNUSED_PAD src0_sel:WORD_1 src1_sel:DWORD
	v_fmac_f16_e32 v38, v23, v33
	v_add_f16_e32 v33, v37, v20
	v_add_f16_e32 v27, v27, v61
	v_mul_f16_sdwa v37, v44, v60 dst_sel:DWORD dst_unused:UNUSED_PAD src0_sel:WORD_1 src1_sel:DWORD
	v_fma_f16 v23, v23, v90, -v40
	v_fmac_f16_e32 v62, v43, v34
	v_add_f16_e32 v33, v33, v21
	v_add_f16_e32 v27, v27, v42
	v_mul_f16_sdwa v34, v43, v34 dst_sel:DWORD dst_unused:UNUSED_PAD src0_sel:WORD_1 src1_sel:DWORD
	v_mul_f16_sdwa v40, v44, v95 dst_sel:DWORD dst_unused:UNUSED_PAD src0_sel:WORD_1 src1_sel:DWORD
	v_fma_f16 v37, v44, v95, -v37
	v_add_f16_e32 v33, v33, v22
	v_add_f16_e32 v27, v27, v38
	v_fma_f16 v34, v43, v93, -v34
	v_fmac_f16_e32 v40, v44, v60
	v_sub_f16_e32 v43, v19, v37
	v_add_f16_e32 v33, v33, v23
	v_add_f16_e32 v27, v27, v62
	;; [unrolled: 1-line block ×4, first 2 shown]
	v_mul_f16_e32 v60, 0xb853, v43
	v_sub_f16_e32 v102, v24, v34
	v_add_f16_e32 v33, v33, v34
	v_sub_f16_e32 v63, v91, v40
	v_mul_f16_e32 v64, 0x3abb, v19
	v_fmamk_f16 v87, v44, 0x3abb, v60
	v_add_f16_e32 v27, v27, v40
	v_mul_f16_e32 v40, 0xbb47, v43
	v_mul_f16_e32 v89, 0x36a6, v19
	;; [unrolled: 1-line block ×8, first 2 shown]
	v_add_f16_e32 v104, v94, v62
	v_mul_f16_e32 v105, 0xbb47, v102
	v_add_f16_e32 v24, v24, v34
	v_add_f16_e32 v33, v33, v37
	v_fmamk_f16 v37, v63, 0x3853, v64
	v_add_f16_e32 v87, v18, v87
	v_fma_f16 v60, v44, 0x3abb, -v60
	v_fmac_f16_e32 v64, 0xb853, v63
	v_fmamk_f16 v88, v44, 0x36a6, v40
	v_fmamk_f16 v91, v63, 0x3b47, v89
	v_fma_f16 v40, v44, 0x36a6, -v40
	v_fmac_f16_e32 v89, 0xbb47, v63
	v_fmamk_f16 v93, v44, 0xb08e, v90
	v_fmamk_f16 v96, v63, 0x3beb, v95
	;; [unrolled: 4-line block ×4, first 2 shown]
	v_fma_f16 v34, v44, 0xbbad, -v43
	v_fmac_f16_e32 v19, 0xb482, v63
	v_sub_f16_e32 v43, v94, v62
	v_fmamk_f16 v44, v104, 0x36a6, v105
	v_mul_f16_e32 v62, 0x36a6, v24
	v_add_f16_sdwa v37, v18, v37 dst_sel:DWORD dst_unused:UNUSED_PAD src0_sel:WORD_1 src1_sel:DWORD
	v_add_f16_e32 v60, v18, v60
	v_add_f16_sdwa v64, v18, v64 dst_sel:DWORD dst_unused:UNUSED_PAD src0_sel:WORD_1 src1_sel:DWORD
	v_add_f16_e32 v88, v18, v88
	;; [unrolled: 2-line block ×10, first 2 shown]
	v_fmamk_f16 v44, v43, 0x3b47, v62
	v_mul_f16_e32 v87, 0xba0c, v102
	v_fma_f16 v94, v104, 0x36a6, -v105
	v_fmac_f16_e32 v62, 0xbb47, v43
	v_mul_f16_e32 v103, 0xb93d, v24
	v_add_f16_e32 v37, v44, v37
	v_fmamk_f16 v44, v104, 0xb93d, v87
	v_add_f16_e32 v60, v94, v60
	v_add_f16_e32 v62, v62, v64
	v_fmamk_f16 v64, v43, 0x3a0c, v103
	v_mul_f16_e32 v94, 0x3482, v102
	v_add_f16_e32 v44, v44, v88
	v_fma_f16 v87, v104, 0xb93d, -v87
	v_fmac_f16_e32 v103, 0xba0c, v43
	v_add_f16_e32 v64, v64, v91
	v_fmamk_f16 v88, v104, 0xbbad, v94
	v_mul_f16_e32 v91, 0xbbad, v24
	v_add_f16_e32 v40, v87, v40
	v_add_f16_e32 v87, v103, v89
	v_mul_f16_e32 v89, 0x3beb, v102
	v_add_f16_e32 v88, v88, v93
	v_fmamk_f16 v93, v43, 0xb482, v91
	v_fmac_f16_e32 v91, 0x3482, v43
	v_mul_f16_e32 v105, 0xb08e, v24
	v_fmamk_f16 v103, v104, 0xb08e, v89
	v_mul_f16_e32 v24, 0x3abb, v24
	v_fma_f16 v89, v104, 0xb08e, -v89
	v_add_f16_e32 v91, v91, v95
	v_fmamk_f16 v95, v43, 0xbbeb, v105
	v_fmac_f16_e32 v105, 0x3beb, v43
	v_fma_f16 v94, v104, 0xbbad, -v94
	v_add_f16_e32 v93, v93, v96
	v_mul_f16_e32 v96, 0x3853, v102
	v_add_f16_e32 v95, v95, v100
	v_fmamk_f16 v100, v43, 0xb853, v24
	v_add_f16_e32 v89, v89, v97
	v_add_f16_e32 v97, v105, v98
	v_sub_f16_e32 v98, v26, v23
	v_add_f16_e32 v23, v26, v23
	v_add_f16_e32 v90, v94, v90
	;; [unrolled: 1-line block ×3, first 2 shown]
	v_fmamk_f16 v99, v104, 0x3abb, v96
	v_add_f16_e32 v63, v100, v63
	v_add_f16_e32 v100, v41, v38
	v_mul_f16_e32 v26, 0xbbeb, v98
	v_fma_f16 v96, v104, 0x3abb, -v96
	v_fmac_f16_e32 v24, 0x3853, v43
	v_sub_f16_e32 v38, v41, v38
	v_mul_f16_e32 v41, 0xb08e, v23
	v_fmamk_f16 v43, v100, 0xb08e, v26
	v_add_f16_e32 v34, v96, v34
	v_add_f16_e32 v18, v24, v18
	v_mul_f16_e32 v24, 0x3482, v98
	v_fmamk_f16 v96, v38, 0x3beb, v41
	v_add_f16_e32 v19, v43, v19
	v_fma_f16 v26, v100, 0xb08e, -v26
	v_fmac_f16_e32 v41, 0xbbeb, v38
	v_fmamk_f16 v43, v100, 0xbbad, v24
	v_add_f16_e32 v37, v96, v37
	v_mul_f16_e32 v96, 0xbbad, v23
	v_add_f16_e32 v26, v26, v60
	v_add_f16_e32 v41, v41, v62
	;; [unrolled: 1-line block ×3, first 2 shown]
	v_mul_f16_e32 v44, 0x3b47, v98
	v_fmamk_f16 v60, v38, 0xb482, v96
	v_mul_f16_e32 v62, 0x36a6, v23
	v_add_f16_e32 v99, v99, v101
	v_fma_f16 v24, v100, 0xbbad, -v24
	v_fmac_f16_e32 v96, 0x3482, v38
	v_fmamk_f16 v101, v100, 0x36a6, v44
	v_add_f16_e32 v60, v60, v64
	v_fmamk_f16 v64, v38, 0xbb47, v62
	v_add_f16_e32 v24, v24, v40
	v_add_f16_e32 v40, v96, v87
	;; [unrolled: 1-line block ×3, first 2 shown]
	v_mul_f16_e32 v88, 0xb853, v98
	v_fma_f16 v44, v100, 0x36a6, -v44
	v_fmac_f16_e32 v62, 0x3b47, v38
	v_add_f16_e32 v64, v64, v93
	v_mul_f16_e32 v93, 0x3abb, v23
	v_fmamk_f16 v96, v100, 0x3abb, v88
	v_add_f16_e32 v44, v44, v90
	v_add_f16_e32 v62, v62, v91
	v_mul_f16_e32 v90, 0xba0c, v98
	v_fmamk_f16 v91, v38, 0x3853, v93
	v_add_f16_e32 v94, v96, v94
	v_fma_f16 v88, v100, 0x3abb, -v88
	v_fmac_f16_e32 v93, 0xb853, v38
	v_fmamk_f16 v96, v100, 0xb93d, v90
	v_add_f16_e32 v91, v91, v95
	v_mul_f16_e32 v23, 0xb93d, v23
	v_sub_f16_e32 v95, v25, v22
	v_add_f16_e32 v22, v25, v22
	v_add_f16_e32 v88, v88, v89
	;; [unrolled: 1-line block ×4, first 2 shown]
	v_fmamk_f16 v96, v38, 0x3a0c, v23
	v_fma_f16 v90, v100, 0xb93d, -v90
	v_add_f16_e32 v25, v92, v42
	v_mul_f16_e32 v97, 0xba0c, v95
	v_fmac_f16_e32 v23, 0xba0c, v38
	v_sub_f16_e32 v38, v92, v42
	v_mul_f16_e32 v42, 0xb93d, v22
	v_add_f16_e32 v34, v90, v34
	v_fmamk_f16 v92, v25, 0xb93d, v97
	v_add_f16_e32 v18, v23, v18
	v_mul_f16_e32 v90, 0x3beb, v95
	v_fmamk_f16 v23, v38, 0x3a0c, v42
	v_fmac_f16_e32 v42, 0xba0c, v38
	v_add_f16_e32 v63, v96, v63
	v_add_f16_e32 v19, v92, v19
	v_fma_f16 v92, v25, 0xb93d, -v97
	v_add_f16_e32 v23, v23, v37
	v_fmamk_f16 v37, v25, 0xb08e, v90
	v_mul_f16_e32 v96, 0xb08e, v22
	v_add_f16_e32 v41, v42, v41
	v_mul_f16_e32 v42, 0xb853, v95
	v_add_f16_e32 v26, v92, v26
	v_add_f16_e32 v37, v37, v43
	v_fmamk_f16 v43, v38, 0xbbeb, v96
	v_fma_f16 v90, v25, 0xb08e, -v90
	v_fmamk_f16 v92, v25, 0x3abb, v42
	v_mul_f16_e32 v97, 0x3abb, v22
	v_fma_f16 v42, v25, 0x3abb, -v42
	v_add_f16_e32 v43, v43, v60
	v_add_f16_e32 v24, v90, v24
	;; [unrolled: 1-line block ×3, first 2 shown]
	v_fmamk_f16 v87, v38, 0x3853, v97
	v_mul_f16_e32 v90, 0xb482, v95
	v_mul_f16_e32 v92, 0xbbad, v22
	v_add_f16_e32 v42, v42, v44
	v_mul_f16_e32 v95, 0x3b47, v95
	v_add_f16_e32 v64, v87, v64
	v_fmamk_f16 v87, v25, 0xbbad, v90
	v_fmamk_f16 v44, v38, 0x3482, v92
	v_fma_f16 v90, v25, 0xbbad, -v90
	v_fmac_f16_e32 v92, 0xb482, v38
	v_mul_f16_e32 v22, 0x36a6, v22
	v_add_f16_e32 v87, v87, v94
	v_add_f16_e32 v44, v44, v91
	v_fmamk_f16 v91, v25, 0x36a6, v95
	v_add_f16_e32 v88, v90, v88
	v_sub_f16_e32 v90, v20, v21
	v_add_f16_e32 v20, v20, v21
	v_fmac_f16_e32 v96, 0x3beb, v38
	v_add_f16_e32 v91, v91, v93
	v_add_f16_e32 v93, v39, v61
	v_mul_f16_e32 v94, 0xb482, v90
	v_fmac_f16_e32 v97, 0xb853, v38
	v_add_f16_e32 v89, v92, v89
	v_fmamk_f16 v92, v38, 0xbb47, v22
	v_fma_f16 v21, v25, 0x36a6, -v95
	v_fmac_f16_e32 v22, 0x3b47, v38
	v_sub_f16_e32 v25, v39, v61
	v_fmamk_f16 v38, v93, 0xbbad, v94
	v_mul_f16_e32 v39, 0xbbad, v20
	v_add_f16_e32 v61, v92, v63
	v_add_f16_e32 v21, v21, v34
	;; [unrolled: 1-line block ×4, first 2 shown]
	v_fmamk_f16 v22, v25, 0x3482, v39
	v_mul_f16_e32 v34, 0x3853, v90
	v_fma_f16 v38, v93, 0xbbad, -v94
	v_fmac_f16_e32 v39, 0xb482, v25
	v_mul_f16_e32 v63, 0x3abb, v20
	v_add_f16_e32 v40, v96, v40
	v_add_f16_e32 v22, v22, v23
	v_fmamk_f16 v23, v93, 0x3abb, v34
	v_add_f16_e32 v26, v38, v26
	v_add_f16_e32 v38, v39, v41
	v_fmamk_f16 v39, v25, 0xb853, v63
	v_mul_f16_e32 v41, 0xba0c, v90
	v_fma_f16 v34, v93, 0x3abb, -v34
	v_fmac_f16_e32 v63, 0x3853, v25
	v_add_f16_e32 v23, v23, v37
	v_add_f16_e32 v37, v39, v43
	v_fmamk_f16 v39, v93, 0xb93d, v41
	v_mul_f16_e32 v43, 0xb93d, v20
	v_add_f16_e32 v24, v34, v24
	v_add_f16_e32 v34, v63, v40
	v_mul_f16_e32 v40, 0x3b47, v90
	v_add_f16_e32 v62, v97, v62
	v_add_f16_e32 v39, v39, v60
	v_fmamk_f16 v60, v25, 0x3a0c, v43
	v_fma_f16 v41, v93, 0xb93d, -v41
	v_fmac_f16_e32 v43, 0xba0c, v25
	v_fmamk_f16 v63, v93, 0x36a6, v40
	v_mul_f16_e32 v92, 0x36a6, v20
	v_mul_f16_e32 v20, 0xb08e, v20
	v_add_f16_e32 v41, v41, v42
	v_add_f16_e32 v42, v43, v62
	;; [unrolled: 1-line block ×3, first 2 shown]
	v_mul_f16_e32 v63, 0xbbeb, v90
	v_add_f16_e32 v60, v60, v64
	v_fmamk_f16 v62, v25, 0xbb47, v92
	v_fmamk_f16 v87, v25, 0x3beb, v20
	v_fma_f16 v40, v93, 0x36a6, -v40
	v_fmamk_f16 v64, v93, 0xb08e, v63
	v_fmac_f16_e32 v92, 0x3b47, v25
	v_fma_f16 v63, v93, 0xb08e, -v63
	v_fmac_f16_e32 v20, 0xbbeb, v25
	v_pack_b32_f16 v25, v27, v33
	v_pack_b32_f16 v19, v19, v22
	v_add_f16_e32 v44, v62, v44
	v_add_f16_e32 v22, v64, v91
	v_add_f16_e32 v27, v87, v61
	v_add_f16_e32 v40, v40, v88
	v_add_f16_e32 v62, v92, v89
	v_add_f16_e32 v21, v63, v21
	v_add_f16_e32 v18, v20, v18
	ds_write2_b32 v65, v25, v19 offset1:84
	v_pack_b32_f16 v19, v23, v37
	v_pack_b32_f16 v20, v39, v60
	;; [unrolled: 1-line block ×9, first 2 shown]
	ds_write2_b32 v65, v19, v20 offset0:168 offset1:252
	ds_write2_b32 v47, v23, v22 offset0:80 offset1:164
	;; [unrolled: 1-line block ×4, first 2 shown]
	ds_write_b32 v65, v26 offset:3360
	s_and_saveexec_b32 s1, s0
	s_cbranch_execz .LBB0_29
; %bb.28:
	v_mul_f16_sdwa v20, v4, v54 dst_sel:DWORD dst_unused:UNUSED_PAD src0_sel:WORD_1 src1_sel:DWORD
	v_mul_f16_sdwa v18, v36, v46 dst_sel:DWORD dst_unused:UNUSED_PAD src0_sel:WORD_1 src1_sel:DWORD
	;; [unrolled: 1-line block ×5, first 2 shown]
	v_fmac_f16_e32 v20, v4, v9
	v_fmac_f16_e32 v18, v36, v45
	v_mul_f16_sdwa v19, v35, v58 dst_sel:DWORD dst_unused:UNUSED_PAD src0_sel:WORD_1 src1_sel:DWORD
	v_fmac_f16_e32 v21, v5, v10
	v_mul_f16_sdwa v10, v5, v10 dst_sel:DWORD dst_unused:UNUSED_PAD src0_sel:WORD_1 src1_sel:DWORD
	v_fma_f16 v9, v36, v46, -v22
	v_fma_f16 v22, v4, v54, -v23
	v_sub_f16_e32 v23, v20, v18
	v_fmac_f16_e32 v19, v35, v17
	v_mul_f16_sdwa v4, v35, v17 dst_sel:DWORD dst_unused:UNUSED_PAD src0_sel:WORD_1 src1_sel:DWORD
	v_fma_f16 v10, v5, v51, -v10
	v_mul_f16_sdwa v34, v6, v53 dst_sel:DWORD dst_unused:UNUSED_PAD src0_sel:WORD_1 src1_sel:DWORD
	v_mul_f16_sdwa v5, v3, v57 dst_sel:DWORD dst_unused:UNUSED_PAD src0_sel:WORD_1 src1_sel:DWORD
	v_mul_f16_e32 v17, 0xb853, v23
	v_add_f16_e32 v24, v9, v22
	v_sub_f16_e32 v25, v21, v19
	v_fma_f16 v4, v35, v58, -v4
	v_fmac_f16_e32 v34, v6, v11
	v_fmac_f16_e32 v5, v3, v16
	v_mul_f16_sdwa v16, v3, v16 dst_sel:DWORD dst_unused:UNUSED_PAD src0_sel:WORD_1 src1_sel:DWORD
	v_mul_f16_sdwa v11, v6, v11 dst_sel:DWORD dst_unused:UNUSED_PAD src0_sel:WORD_1 src1_sel:DWORD
	;; [unrolled: 1-line block ×4, first 2 shown]
	v_fmamk_f16 v26, v24, 0x3abb, v17
	v_mul_f16_e32 v27, 0xbb47, v25
	v_add_f16_e32 v33, v4, v10
	v_sub_f16_e32 v38, v34, v5
	v_fma_f16 v3, v3, v57, -v16
	v_fma_f16 v6, v6, v53, -v11
	v_fmac_f16_e32 v36, v7, v12
	v_fmac_f16_e32 v37, v2, v15
	v_mul_f16_sdwa v11, v2, v15 dst_sel:DWORD dst_unused:UNUSED_PAD src0_sel:WORD_1 src1_sel:DWORD
	v_mul_f16_sdwa v12, v7, v12 dst_sel:DWORD dst_unused:UNUSED_PAD src0_sel:WORD_1 src1_sel:DWORD
	v_add_f16_e32 v26, v49, v26
	v_fmamk_f16 v35, v33, 0x36a6, v27
	v_mul_f16_e32 v15, 0xbbeb, v38
	v_add_f16_e32 v16, v3, v6
	v_sub_f16_e32 v39, v36, v37
	v_fma_f16 v2, v2, v56, -v11
	v_fma_f16 v7, v7, v55, -v12
	v_add_f16_e32 v11, v35, v26
	v_fmamk_f16 v12, v16, 0xb08e, v15
	v_mul_f16_e32 v26, 0xba0c, v39
	v_mul_f16_sdwa v40, v0, v50 dst_sel:DWORD dst_unused:UNUSED_PAD src0_sel:WORD_1 src1_sel:DWORD
	v_add_f16_e32 v35, v2, v7
	v_mul_f16_sdwa v41, v1, v52 dst_sel:DWORD dst_unused:UNUSED_PAD src0_sel:WORD_1 src1_sel:DWORD
	v_add_f16_e32 v11, v12, v11
	v_add_f16_e32 v42, v18, v20
	v_fmac_f16_e32 v40, v0, v13
	v_fmamk_f16 v12, v35, 0xb93d, v26
	v_fmac_f16_e32 v41, v1, v14
	v_mul_f16_sdwa v14, v1, v14 dst_sel:DWORD dst_unused:UNUSED_PAD src0_sel:WORD_1 src1_sel:DWORD
	v_mul_f16_sdwa v13, v0, v13 dst_sel:DWORD dst_unused:UNUSED_PAD src0_sel:WORD_1 src1_sel:DWORD
	v_sub_f16_e32 v45, v10, v4
	v_add_f16_e32 v11, v12, v11
	v_sub_f16_e32 v12, v22, v9
	v_sub_f16_e32 v44, v40, v41
	v_fma_f16 v1, v1, v52, -v14
	v_fma_f16 v0, v0, v50, -v13
	v_add_f16_e32 v14, v19, v21
	v_mul_f16_e32 v43, 0xb853, v12
	v_mul_f16_e32 v47, 0xb482, v44
	;; [unrolled: 1-line block ×3, first 2 shown]
	v_add_f16_e32 v50, v1, v0
	v_sub_f16_e32 v48, v6, v3
	v_fma_f16 v13, v42, 0x3abb, -v43
	v_add_f16_e32 v52, v5, v34
	v_fma_f16 v51, v14, 0x36a6, -v46
	v_fmamk_f16 v54, v50, 0xbbad, v47
	v_mul_f16_e32 v53, 0xbbeb, v48
	v_add_f16_e32 v13, v8, v13
	v_mul_f16_e32 v59, 0xba0c, v25
	v_add_f16_e32 v56, v37, v36
	v_add_f16_e32 v11, v54, v11
	v_mul_f16_e32 v54, 0xbb47, v23
	v_add_f16_e32 v13, v51, v13
	v_sub_f16_e32 v51, v7, v2
	v_fma_f16 v55, v52, 0xb08e, -v53
	v_fmamk_f16 v63, v33, 0xb93d, v59
	v_fmamk_f16 v58, v24, 0x36a6, v54
	v_mul_f16_e32 v64, 0x3482, v38
	v_mul_f16_e32 v57, 0xba0c, v51
	v_add_f16_e32 v13, v55, v13
	v_sub_f16_e32 v55, v0, v1
	v_add_f16_e32 v58, v49, v58
	v_add_f16_e32 v61, v41, v40
	v_fma_f16 v60, v56, 0xb93d, -v57
	v_mul_f16_e32 v88, 0x3beb, v39
	v_mul_f16_e32 v62, 0xb482, v55
	v_add_f16_e32 v58, v63, v58
	v_fmamk_f16 v63, v16, 0xbbad, v64
	v_add_f16_e32 v13, v60, v13
	v_mul_f16_e32 v87, 0xbb47, v12
	v_fma_f16 v60, v61, 0xbbad, -v62
	v_mul_f16_e32 v90, 0x3853, v44
	v_add_f16_e32 v58, v63, v58
	v_fmamk_f16 v63, v35, 0xb08e, v88
	v_mul_f16_e32 v89, 0xba0c, v45
	v_add_f16_e32 v13, v60, v13
	v_fma_f16 v60, v42, 0x36a6, -v87
	v_mul_f16_e32 v93, 0xbbeb, v23
	v_add_f16_e32 v58, v63, v58
	v_fmamk_f16 v63, v50, 0x3abb, v90
	v_fma_f16 v91, v14, 0xb93d, -v89
	v_add_f16_e32 v60, v8, v60
	v_mul_f16_e32 v92, 0x3482, v48
	v_mul_f16_e32 v95, 0x3482, v25
	v_add_f16_e32 v58, v63, v58
	v_fmamk_f16 v63, v24, 0xb08e, v93
	v_add_f16_e32 v60, v91, v60
	v_fma_f16 v91, v52, 0xbbad, -v92
	v_mul_f16_e32 v94, 0x3beb, v51
	v_fmamk_f16 v97, v33, 0xbbad, v95
	v_add_f16_e32 v63, v49, v63
	v_mul_f16_e32 v98, 0x3b47, v38
	v_add_f16_e32 v60, v91, v60
	v_fma_f16 v91, v56, 0xb08e, -v94
	v_mul_f16_e32 v96, 0x3853, v55
	v_add_f16_e32 v63, v97, v63
	v_fmamk_f16 v97, v16, 0x36a6, v98
	v_mul_f16_e32 v100, 0xb853, v39
	v_add_f16_e32 v60, v91, v60
	v_fma_f16 v91, v61, 0x3abb, -v96
	v_mul_f16_e32 v99, 0xbbeb, v12
	v_add_f16_e32 v63, v97, v63
	v_fmamk_f16 v97, v35, 0x3abb, v100
	;; [unrolled: 6-line block ×9, first 2 shown]
	v_mul_f16_e32 v25, 0x3853, v25
	v_fma_f16 v23, v24, 0xbbad, -v23
	v_add_f16_e32 v103, v115, v103
	v_fma_f16 v115, v52, 0x3abb, -v116
	v_mul_f16_e32 v117, 0xb482, v51
	v_add_f16_e32 v109, v49, v109
	v_fmamk_f16 v119, v33, 0x3abb, v25
	v_mul_f16_e32 v38, 0xba0c, v38
	v_add_f16_e32 v23, v49, v23
	v_fma_f16 v25, v33, 0x3abb, -v25
	v_add_f16_e32 v103, v115, v103
	v_fma_f16 v115, v56, 0xbbad, -v117
	v_mul_f16_e32 v118, 0x3b47, v55
	v_add_f16_e32 v109, v119, v109
	v_fmamk_f16 v119, v16, 0xb93d, v38
	v_mul_f16_e32 v39, 0x3b47, v39
	v_add_f16_e32 v23, v25, v23
	;; [unrolled: 8-line block ×3, first 2 shown]
	v_fma_f16 v25, v35, 0x36a6, -v39
	v_fma_f16 v39, v24, 0xb93d, -v105
	v_add_f16_e32 v103, v115, v103
	v_fma_f16 v115, v42, 0xbbad, -v12
	v_mul_f16_e32 v45, 0x3853, v45
	v_add_f16_e32 v109, v119, v109
	v_fmamk_f16 v119, v50, 0xb08e, v44
	v_fmac_f16_e32 v12, 0xbbad, v42
	v_add_f16_e32 v23, v25, v23
	v_fma_f16 v25, v50, 0xb08e, -v44
	v_add_f16_e32 v39, v49, v39
	v_fma_f16 v44, v33, 0xb08e, -v107
	v_add_f16_e32 v115, v8, v115
	v_fma_f16 v120, v14, 0x3abb, -v45
	v_mul_f16_e32 v48, 0xba0c, v48
	v_add_f16_e32 v12, v8, v12
	v_fmac_f16_e32 v45, 0x3abb, v14
	v_add_f16_e32 v23, v25, v23
	v_add_f16_e32 v25, v44, v39
	v_fma_f16 v39, v16, 0x3abb, -v110
	v_add_f16_e32 v115, v120, v115
	v_fma_f16 v120, v52, 0xb93d, -v48
	v_add_f16_e32 v12, v45, v12
	v_fmac_f16_e32 v48, 0xb93d, v52
	v_add_f16_e32 v25, v39, v25
	v_fma_f16 v39, v24, 0xb08e, -v93
	v_add_f16_e32 v20, v8, v20
	v_add_f16_e32 v22, v22, v49
	v_mul_f16_e32 v51, 0x3b47, v51
	v_add_f16_e32 v12, v48, v12
	v_fma_f16 v45, v35, 0xbbad, -v112
	v_add_f16_e32 v39, v49, v39
	v_fma_f16 v48, v33, 0xbbad, -v95
	v_add_f16_e32 v20, v21, v20
	v_add_f16_e32 v10, v10, v22
	;; [unrolled: 1-line block ×4, first 2 shown]
	v_fma_f16 v119, v56, 0x36a6, -v51
	v_mul_f16_e32 v55, 0xbbeb, v55
	v_fmac_f16_e32 v51, 0x36a6, v56
	v_add_f16_e32 v25, v45, v25
	v_add_f16_e32 v39, v48, v39
	v_fma_f16 v45, v16, 0x36a6, -v98
	v_add_f16_e32 v20, v34, v20
	v_add_f16_e32 v6, v6, v10
	v_add_f16_e32 v38, v119, v115
	v_fma_f16 v115, v61, 0xb08e, -v55
	v_add_f16_e32 v12, v51, v12
	v_fmac_f16_e32 v55, 0xb08e, v61
	v_add_f16_e32 v39, v45, v39
	v_fma_f16 v45, v35, 0x3abb, -v100
	v_fma_f16 v10, v24, 0x3abb, -v17
	v_add_f16_e32 v17, v36, v20
	v_add_f16_e32 v6, v7, v6
	v_fmac_f16_e32 v111, 0xb93d, v42
	v_add_f16_e32 v12, v55, v12
	v_fmac_f16_e32 v99, 0xb08e, v42
	v_fma_f16 v54, v24, 0x36a6, -v54
	v_add_f16_e32 v39, v45, v39
	v_fma_f16 v55, v50, 0xb93d, -v102
	v_fmac_f16_e32 v87, 0x36a6, v42
	v_fmac_f16_e32 v43, 0x3abb, v42
	v_add_f16_e32 v7, v49, v10
	v_fma_f16 v10, v33, 0x36a6, -v27
	v_add_f16_e32 v17, v40, v17
	v_add_f16_e32 v0, v0, v6
	;; [unrolled: 1-line block ×5, first 2 shown]
	v_fma_f16 v54, v33, 0xb93d, -v59
	v_add_f16_e32 v39, v55, v39
	v_add_f16_e32 v55, v8, v87
	;; [unrolled: 1-line block ×3, first 2 shown]
	v_fmac_f16_e32 v46, 0x36a6, v14
	v_add_f16_e32 v6, v10, v7
	v_fma_f16 v7, v16, 0xb08e, -v15
	v_add_f16_e32 v10, v41, v17
	v_add_f16_e32 v0, v1, v0
	v_fmac_f16_e32 v101, 0xbbad, v14
	v_add_f16_e32 v45, v54, v45
	v_fma_f16 v54, v16, 0xbbad, -v64
	v_fmac_f16_e32 v89, 0xb93d, v14
	v_add_f16_e32 v1, v46, v8
	v_fmac_f16_e32 v53, 0xb08e, v52
	v_add_f16_e32 v6, v7, v6
	v_add_f16_e32 v7, v37, v10
	;; [unrolled: 1-line block ×3, first 2 shown]
	v_fmac_f16_e32 v113, 0xb08e, v14
	v_add_f16_e32 v51, v101, v51
	v_fmac_f16_e32 v104, 0x36a6, v52
	v_add_f16_e32 v45, v54, v45
	v_fma_f16 v54, v35, 0xb08e, -v88
	v_add_f16_e32 v55, v89, v55
	v_fmac_f16_e32 v92, 0xbbad, v52
	v_fma_f16 v2, v35, 0xb93d, -v26
	v_add_f16_e32 v1, v53, v1
	v_fmac_f16_e32 v57, 0xb93d, v56
	v_add_f16_e32 v5, v5, v7
	v_add_f16_e32 v0, v3, v0
	v_add_f16_e32 v44, v113, v44
	v_fmac_f16_e32 v116, 0x3abb, v52
	v_add_f16_e32 v51, v104, v51
	v_fmac_f16_e32 v106, 0x3abb, v56
	v_add_f16_e32 v21, v54, v45
	v_add_f16_e32 v45, v92, v55
	v_fmac_f16_e32 v94, 0xb08e, v56
	v_add_f16_e32 v2, v2, v6
	v_fma_f16 v3, v50, 0xbbad, -v47
	v_add_f16_e32 v1, v57, v1
	v_add_f16_e32 v5, v19, v5
	;; [unrolled: 1-line block ×3, first 2 shown]
	v_fmac_f16_e32 v62, 0xbbad, v61
	v_add_f16_e32 v44, v116, v44
	v_fmac_f16_e32 v117, 0xbbad, v56
	v_add_f16_e32 v51, v106, v51
	v_fma_f16 v22, v50, 0x3abb, -v90
	v_add_f16_e32 v4, v94, v45
	v_add_f16_e32 v2, v3, v2
	;; [unrolled: 1-line block ×5, first 2 shown]
	v_fmac_f16_e32 v96, 0x3abb, v61
	v_fmac_f16_e32 v108, 0xb93d, v61
	v_fma_f16 v48, v50, 0x36a6, -v114
	v_add_f16_e32 v44, v117, v44
	v_fmac_f16_e32 v118, 0x36a6, v61
	v_add_f16_e32 v5, v22, v21
	v_pack_b32_f16 v0, v3, v0
	v_pack_b32_f16 v1, v1, v2
	v_add_f16_e32 v2, v96, v4
	v_add_f16_e32 v3, v108, v51
	;; [unrolled: 1-line block ×5, first 2 shown]
	ds_write2_b32 v65, v0, v1 offset0:44 offset1:128
	v_pack_b32_f16 v0, v2, v5
	v_pack_b32_f16 v1, v3, v39
	v_add_nc_u32_e32 v2, 0x200, v65
	v_pack_b32_f16 v3, v6, v4
	v_pack_b32_f16 v4, v12, v23
	v_add_nc_u32_e32 v5, 0x400, v65
	;; [unrolled: 3-line block ×4, first 2 shown]
	v_pack_b32_f16 v11, v13, v11
	ds_write2_b32 v2, v0, v1 offset0:84 offset1:168
	ds_write2_b32 v5, v3, v4 offset0:124 offset1:208
	ds_write2_b32 v8, v6, v7 offset0:36 offset1:120
	ds_write2_b32 v12, v9, v10 offset0:76 offset1:160
	ds_write_b32 v65, v11 offset:3536
.LBB0_29:
	s_or_b32 exec_lo, exec_lo, s1
	s_waitcnt lgkmcnt(0)
	s_barrier
	buffer_gl0_inv
	ds_read2_b32 v[1:2], v65 offset1:44
	v_add_nc_u32_e32 v0, 0x400, v65
	s_mov_b32 s4, 0x4046ed29
	s_mov_b32 s5, 0x3f51bb4a
	ds_read2_b32 v[3:4], v0 offset0:206 offset1:250
	s_waitcnt lgkmcnt(1)
	v_lshrrev_b32_e32 v5, 16, v1
	v_mul_f16_sdwa v6, v85, v1 dst_sel:DWORD dst_unused:UNUSED_PAD src0_sel:WORD_1 src1_sel:DWORD
	v_lshrrev_b32_e32 v22, 16, v2
	v_mul_f16_sdwa v7, v85, v5 dst_sel:DWORD dst_unused:UNUSED_PAD src0_sel:WORD_1 src1_sel:DWORD
	v_fma_f16 v5, v85, v5, -v6
	s_waitcnt lgkmcnt(0)
	v_lshrrev_b32_e32 v11, 16, v3
	v_mul_f16_sdwa v6, v86, v3 dst_sel:DWORD dst_unused:UNUSED_PAD src0_sel:WORD_1 src1_sel:DWORD
	v_mul_f16_sdwa v15, v84, v22 dst_sel:DWORD dst_unused:UNUSED_PAD src0_sel:WORD_1 src1_sel:DWORD
	v_fmac_f16_e32 v7, v85, v1
	v_cvt_f32_f16_e32 v1, v5
	v_mul_f16_sdwa v16, v86, v11 dst_sel:DWORD dst_unused:UNUSED_PAD src0_sel:WORD_1 src1_sel:DWORD
	v_fma_f16 v12, v86, v11, -v6
	v_fmac_f16_e32 v15, v84, v2
	v_cvt_f32_f16_e32 v9, v7
	v_cvt_f64_f32_e32 v[5:6], v1
	v_mad_u64_u32 v[7:8], null, s10, v32, 0
	v_cvt_f32_f16_e32 v1, v12
	v_cvt_f64_f32_e32 v[9:10], v9
	v_fmac_f16_e32 v16, v86, v3
	v_mad_u64_u32 v[11:12], null, s8, v83, 0
	v_cvt_f64_f32_e32 v[13:14], v1
	v_mov_b32_e32 v1, v8
	v_cvt_f32_f16_e32 v18, v16
	v_cvt_f32_f16_e32 v8, v15
	v_mad_u64_u32 v[15:16], null, s11, v32, v[1:2]
	v_cvt_f64_f32_e32 v[18:19], v18
	v_mov_b32_e32 v3, v12
	v_cvt_f64_f32_e32 v[16:17], v8
	v_mul_f64 v[5:6], v[5:6], s[4:5]
	v_mov_b32_e32 v8, v15
	v_mad_u64_u32 v[20:21], null, s9, v83, v[3:4]
	v_mul_f64 v[9:10], v[9:10], s[4:5]
	v_mul_f16_sdwa v3, v84, v2 dst_sel:DWORD dst_unused:UNUSED_PAD src0_sel:WORD_1 src1_sel:DWORD
	v_lshlrev_b64 v[1:2], 2, v[7:8]
	v_mul_f64 v[7:8], v[13:14], s[4:5]
	v_mov_b32_e32 v12, v20
	v_fma_f16 v3, v84, v22, -v3
	v_add_co_u32 v15, s0, s6, v1
	v_add_co_ci_u32_e64 v20, s0, s7, v2, s0
	v_mul_f64 v[13:14], v[18:19], s[4:5]
	v_lshlrev_b64 v[11:12], 2, v[11:12]
	v_mul_f64 v[1:2], v[16:17], s[4:5]
	v_cvt_f32_f16_e32 v3, v3
	v_and_or_b32 v5, 0x1ff, v6, v5
	v_lshrrev_b32_e32 v16, 8, v6
	v_bfe_u32 v17, v6, 20, 11
	v_lshrrev_b32_e32 v6, 16, v6
	v_and_or_b32 v9, 0x1ff, v10, v9
	v_cmp_ne_u32_e64 s0, 0, v5
	v_lshrrev_b32_e32 v18, 8, v10
	v_bfe_u32 v19, v10, 20, 11
	v_and_or_b32 v7, 0x1ff, v8, v7
	v_sub_nc_u32_e32 v21, 0x3f1, v17
	v_cndmask_b32_e64 v5, 0, 1, s0
	v_cmp_ne_u32_e64 s0, 0, v9
	v_sub_nc_u32_e32 v24, 0x3f1, v19
	v_add_nc_u32_e32 v17, 0xfffffc10, v17
	v_bfe_u32 v23, v8, 20, 11
	v_and_or_b32 v5, 0xffe, v16, v5
	v_cndmask_b32_e64 v9, 0, 1, s0
	v_cmp_ne_u32_e64 s0, 0, v7
	v_and_or_b32 v13, 0x1ff, v14, v13
	v_med3_i32 v16, v21, 0, 13
	v_lshl_or_b32 v27, v17, 12, v5
	v_and_or_b32 v9, 0xffe, v18, v9
	v_cndmask_b32_e64 v7, 0, 1, s0
	v_med3_i32 v18, v24, 0, 13
	v_cmp_ne_u32_e64 s0, 0, v5
	v_or_b32_e32 v24, 0x1000, v5
	v_or_b32_e32 v32, 0x1000, v9
	v_lshrrev_b32_e32 v22, 8, v8
	v_add_nc_u32_e32 v19, 0xfffffc10, v19
	v_cndmask_b32_e64 v5, 0, 1, s0
	v_cmp_ne_u32_e64 s0, 0, v13
	v_lshrrev_b32_e32 v34, v18, v32
	v_sub_nc_u32_e32 v26, 0x3f1, v23
	v_lshrrev_b32_e32 v35, v16, v24
	v_lshrrev_b32_e32 v21, 8, v14
	v_cndmask_b32_e64 v13, 0, 1, s0
	v_lshlrev_b32_e32 v18, v18, v34
	v_cmp_ne_u32_e64 s0, 0, v9
	v_bfe_u32 v25, v14, 20, 11
	v_and_or_b32 v7, 0xffe, v22, v7
	v_med3_i32 v22, v26, 0, 13
	v_lshl_or_b32 v26, v19, 12, v9
	v_cndmask_b32_e64 v9, 0, 1, s0
	v_lshlrev_b32_e32 v16, v16, v35
	v_cmp_ne_u32_e64 s0, v18, v32
	v_sub_nc_u32_e32 v33, 0x3f1, v25
	v_and_or_b32 v13, 0xffe, v21, v13
	v_add_nc_u32_e32 v25, 0xfffffc10, v25
	v_lshl_or_b32 v9, v9, 9, 0x7c00
	v_cndmask_b32_e64 v18, 0, 1, s0
	v_cmp_ne_u32_e64 s0, v16, v24
	v_med3_i32 v21, v33, 0, 13
	v_or_b32_e32 v32, 0x1000, v13
	v_lshl_or_b32 v5, v5, 9, 0x7c00
	v_or_b32_e32 v18, v34, v18
	v_cndmask_b32_e64 v16, 0, 1, s0
	v_cmp_gt_i32_e64 s0, 1, v19
	v_lshrrev_b32_e32 v24, v21, v32
	v_lshrrev_b32_e32 v10, 16, v10
	v_and_or_b32 v1, 0x1ff, v2, v1
	v_or_b32_e32 v16, v35, v16
	v_cndmask_b32_e64 v18, v26, v18, s0
	v_cmp_gt_i32_e64 s0, 1, v17
	v_lshlrev_b32_e32 v21, v21, v24
	v_lshl_or_b32 v26, v25, 12, v13
	v_lshrrev_b32_e32 v14, 16, v14
	v_cndmask_b32_e64 v16, v27, v16, s0
	v_and_b32_e32 v27, 7, v18
	v_cmp_ne_u32_e64 s0, v21, v32
	v_lshrrev_b32_e32 v18, 2, v18
	v_and_b32_e32 v32, 7, v16
	v_cmp_eq_u32_e64 s1, 3, v27
	v_cndmask_b32_e64 v21, 0, 1, s0
	v_cmp_lt_i32_e64 s0, 5, v27
	v_lshrrev_b32_e32 v16, 2, v16
	v_cmp_lt_i32_e64 s2, 5, v32
	v_cmp_eq_u32_e64 s3, 3, v32
	v_or_b32_e32 v21, v24, v21
	s_or_b32 s0, s1, s0
	v_add_co_ci_u32_e64 v18, s0, 0, v18, s0
	s_or_b32 s0, s3, s2
	v_add_co_ci_u32_e64 v16, s0, 0, v16, s0
	v_cmp_gt_i32_e64 s0, 31, v19
	v_cndmask_b32_e64 v18, 0x7c00, v18, s0
	v_cmp_gt_i32_e64 s0, 1, v25
	v_cndmask_b32_e64 v21, v26, v21, s0
	;; [unrolled: 2-line block ×3, first 2 shown]
	v_cmp_eq_u32_e64 s0, 0x40f, v19
	v_and_b32_e32 v19, 7, v21
	v_cndmask_b32_e64 v9, v18, v9, s0
	v_cmp_eq_u32_e64 s0, 0x40f, v17
	v_or_b32_e32 v18, 0x1000, v7
	v_cmp_eq_u32_e64 s1, 3, v19
	v_bfe_u32 v17, v2, 20, 11
	v_and_or_b32 v9, 0x8000, v10, v9
	v_cndmask_b32_e64 v5, v16, v5, s0
	v_lshrrev_b32_e32 v10, v22, v18
	v_cmp_lt_i32_e64 s0, 5, v19
	v_and_b32_e32 v9, 0xffff, v9
	v_and_or_b32 v16, 0x8000, v6, v5
	v_add_co_u32 v5, s2, v15, v11
	v_lshrrev_b32_e32 v11, 2, v21
	v_add_co_ci_u32_e64 v6, s2, v20, v12, s2
	v_lshlrev_b32_e32 v12, v22, v10
	s_or_b32 s0, s1, s0
	v_lshl_or_b32 v15, v16, 16, v9
	v_add_co_ci_u32_e64 v11, s0, 0, v11, s0
	v_cmp_ne_u32_e64 s0, v12, v18
	v_add_nc_u32_e32 v12, 0xfffffc10, v23
	global_store_dword v[5:6], v15, off
	s_mul_i32 s2, s8, 0x1ce
	v_cndmask_b32_e64 v9, 0, 1, s0
	v_cmp_ne_u32_e64 s0, 0, v13
	v_or_b32_e32 v16, v10, v9
	v_cvt_f64_f32_e32 v[9:10], v3
	v_cndmask_b32_e64 v13, 0, 1, s0
	v_cmp_gt_i32_e64 s0, 31, v25
	v_lshl_or_b32 v3, v12, 12, v7
	v_lshl_or_b32 v13, v13, 9, 0x7c00
	v_cndmask_b32_e64 v11, 0x7c00, v11, s0
	v_cmp_gt_i32_e64 s0, 1, v12
	v_cndmask_b32_e64 v3, v3, v16, s0
	v_cmp_ne_u32_e64 s0, 0, v1
	v_lshrrev_b32_e32 v16, 8, v2
	v_and_b32_e32 v18, 7, v3
	v_cndmask_b32_e64 v1, 0, 1, s0
	v_cmp_eq_u32_e64 s0, 0x40f, v25
	v_lshrrev_b32_e32 v3, 2, v3
	v_mul_f64 v[9:10], v[9:10], s[4:5]
	v_cmp_eq_u32_e64 s1, 3, v18
	v_and_or_b32 v1, 0xffe, v16, v1
	v_cndmask_b32_e64 v11, v11, v13, s0
	v_cmp_lt_i32_e64 s0, 5, v18
	v_sub_nc_u32_e32 v13, 0x3f1, v17
	v_or_b32_e32 v16, 0x1000, v1
	v_and_or_b32 v11, 0x8000, v14, v11
	s_or_b32 s0, s1, s0
	v_med3_i32 v13, v13, 0, 13
	v_add_co_ci_u32_e64 v3, s0, 0, v3, s0
	v_cmp_ne_u32_e64 s0, 0, v7
	v_and_b32_e32 v11, 0xffff, v11
	v_lshrrev_b32_e32 v18, v13, v16
	s_mul_hi_u32 s1, s8, 0x1ce
	v_cndmask_b32_e64 v7, 0, 1, s0
	v_cmp_gt_i32_e64 s0, 31, v12
	v_lshlrev_b32_e32 v13, v13, v18
	v_and_or_b32 v9, 0x1ff, v10, v9
	v_lshl_or_b32 v7, v7, 9, 0x7c00
	v_cndmask_b32_e64 v3, 0x7c00, v3, s0
	v_cmp_eq_u32_e64 s0, 0x40f, v12
	v_lshrrev_b32_e32 v12, 16, v4
	v_lshrrev_b32_e32 v15, 8, v10
	v_cndmask_b32_e64 v3, v3, v7, s0
	v_cmp_ne_u32_e64 s0, v13, v16
	v_mul_f16_sdwa v14, v82, v12 dst_sel:DWORD dst_unused:UNUSED_PAD src0_sel:WORD_1 src1_sel:DWORD
	v_lshrrev_b32_e32 v7, 16, v8
	v_add_nc_u32_e32 v13, 0xfffffc10, v17
	v_bfe_u32 v16, v10, 20, 11
	v_cndmask_b32_e64 v8, 0, 1, s0
	v_cmp_ne_u32_e64 s0, 0, v9
	v_fmac_f16_e32 v14, v82, v4
	v_and_or_b32 v3, 0x8000, v7, v3
	v_or_b32_e32 v7, v18, v8
	v_cndmask_b32_e64 v9, 0, 1, s0
	v_lshl_or_b32 v8, v13, 12, v1
	v_cmp_gt_i32_e64 s0, 1, v13
	v_cvt_f32_f16_e32 v14, v14
	v_and_or_b32 v9, 0xffe, v15, v9
	v_sub_nc_u32_e32 v15, 0x3f1, v16
	v_cndmask_b32_e64 v17, v8, v7, s0
	v_cvt_f64_f32_e32 v[7:8], v14
	s_mul_i32 s0, s9, 0x1ce
	v_or_b32_e32 v18, 0x1000, v9
	v_med3_i32 v15, v15, 0, 13
	v_and_b32_e32 v14, 7, v17
	s_add_i32 s3, s1, s0
	v_add_nc_u32_e32 v16, 0xfffffc10, v16
	s_lshl_b64 s[6:7], s[2:3], 2
	v_lshrrev_b32_e32 v19, v15, v18
	v_cmp_lt_i32_e64 s0, 5, v14
	v_cmp_eq_u32_e64 s1, 3, v14
	v_lshl_or_b32 v14, v3, 16, v11
	v_lshrrev_b32_e32 v3, 2, v17
	v_lshlrev_b32_e32 v11, v15, v19
	v_mul_f16_sdwa v17, v82, v4 dst_sel:DWORD dst_unused:UNUSED_PAD src0_sel:WORD_1 src1_sel:DWORD
	s_or_b32 s0, s1, s0
	v_add_co_ci_u32_e64 v15, s0, 0, v3, s0
	v_cmp_ne_u32_e64 s0, v11, v18
	v_mul_f64 v[3:4], v[7:8], s[4:5]
	v_fma_f16 v7, v82, v12, -v17
	v_cndmask_b32_e64 v11, 0, 1, s0
	v_cmp_ne_u32_e64 s0, 0, v1
	v_cvt_f32_f16_e32 v7, v7
	v_or_b32_e32 v8, v19, v11
	v_cndmask_b32_e64 v1, 0, 1, s0
	v_cmp_gt_i32_e64 s0, 31, v13
	v_lshl_or_b32 v11, v16, 12, v9
	v_lshl_or_b32 v1, v1, 9, 0x7c00
	v_cndmask_b32_e64 v15, 0x7c00, v15, s0
	v_cmp_gt_i32_e64 s0, 1, v16
	v_cndmask_b32_e64 v17, v11, v8, s0
	v_add_co_u32 v5, s0, v5, s6
	v_cvt_f64_f32_e32 v[7:8], v7
	v_add_co_ci_u32_e64 v6, s0, s7, v6, s0
	v_cmp_eq_u32_e64 s0, 0x40f, v13
	ds_read2_b32 v[11:12], v65 offset0:88 offset1:132
	v_and_b32_e32 v18, 7, v17
	global_store_dword v[5:6], v14, off
	v_cndmask_b32_e64 v13, v15, v1, s0
	v_and_or_b32 v1, 0x1ff, v4, v3
	v_cmp_lt_i32_e64 s0, 5, v18
	v_cmp_eq_u32_e64 s1, 3, v18
	v_lshrrev_b32_e32 v3, 16, v2
	v_lshrrev_b32_e32 v2, 2, v17
	v_cmp_ne_u32_e64 s2, 0, v1
	v_lshrrev_b32_e32 v15, 8, v4
	s_or_b32 s0, s1, s0
	v_bfe_u32 v18, v4, 20, 11
	v_add_co_ci_u32_e64 v17, s0, 0, v2, s0
	v_cndmask_b32_e64 v1, 0, 1, s2
	v_cmp_ne_u32_e64 s0, 0, v9
	v_and_or_b32 v3, 0x8000, v3, v13
	s_mul_i32 s1, s9, 0xfffffe5e
	s_waitcnt lgkmcnt(0)
	v_lshrrev_b32_e32 v19, 16, v11
	v_and_or_b32 v15, 0xffe, v15, v1
	v_mul_f64 v[1:2], v[7:8], s[4:5]
	v_cndmask_b32_e64 v9, 0, 1, s0
	v_sub_nc_u32_e32 v7, 0x3f1, v18
	v_cmp_gt_i32_e64 s0, 31, v16
	v_mul_f16_sdwa v20, v81, v19 dst_sel:DWORD dst_unused:UNUSED_PAD src0_sel:WORD_1 src1_sel:DWORD
	v_and_b32_e32 v3, 0xffff, v3
	v_lshl_or_b32 v9, v9, 9, 0x7c00
	v_med3_i32 v7, v7, 0, 13
	v_cndmask_b32_e64 v8, 0x7c00, v17, s0
	v_or_b32_e32 v17, 0x1000, v15
	v_cmp_eq_u32_e64 s0, 0x40f, v16
	v_fmac_f16_e32 v20, v81, v11
	v_add_nc_u32_e32 v16, 0xfffffc10, v18
	v_lshrrev_b32_e32 v4, 16, v4
	v_cndmask_b32_e64 v8, v8, v9, s0
	v_lshrrev_b32_e32 v9, 16, v10
	v_lshrrev_b32_e32 v10, v7, v17
	s_mul_hi_u32 s0, s8, 0xfffffe5e
	s_sub_i32 s2, s0, s8
	v_and_or_b32 v9, 0x8000, v9, v8
	v_lshlrev_b32_e32 v13, v7, v10
	v_cvt_f32_f16_e32 v8, v20
	v_and_or_b32 v1, 0x1ff, v2, v1
	v_lshrrev_b32_e32 v14, 8, v2
	s_add_i32 s1, s2, s1
	v_cmp_ne_u32_e64 s0, v13, v17
	v_cvt_f64_f32_e32 v[7:8], v8
	v_bfe_u32 v17, v2, 20, 11
	v_lshl_or_b32 v20, v9, 16, v3
	v_mul_f16_sdwa v9, v81, v11 dst_sel:DWORD dst_unused:UNUSED_PAD src0_sel:WORD_1 src1_sel:DWORD
	v_cndmask_b32_e64 v13, 0, 1, s0
	v_cmp_ne_u32_e64 s0, 0, v1
	v_fma_f16 v9, v81, v19, -v9
	v_or_b32_e32 v10, v10, v13
	v_cndmask_b32_e64 v1, 0, 1, s0
	v_lshl_or_b32 v13, v16, 12, v15
	v_cmp_gt_i32_e64 s0, 1, v16
	v_cvt_f32_f16_e32 v9, v9
	v_and_or_b32 v18, 0xffe, v14, v1
	v_sub_nc_u32_e32 v1, 0x3f1, v17
	v_cndmask_b32_e64 v10, v13, v10, s0
	s_mul_i32 s0, s8, 0xfffffe5e
	v_add_nc_u32_e32 v17, 0xfffffc10, v17
	v_or_b32_e32 v13, 0x1000, v18
	v_med3_i32 v1, v1, 0, 13
	s_lshl_b64 s[8:9], s[0:1], 2
	v_and_b32_e32 v3, 7, v10
	v_mul_f64 v[7:8], v[7:8], s[4:5]
	v_add_co_u32 v5, s0, v5, s8
	v_lshrrev_b32_e32 v21, v1, v13
	v_add_co_ci_u32_e64 v6, s0, s9, v6, s0
	v_cmp_lt_i32_e64 s0, 5, v3
	v_cmp_eq_u32_e64 s1, 3, v3
	v_lshrrev_b32_e32 v3, 2, v10
	v_lshlrev_b32_e32 v11, v1, v21
	v_add_nc_u32_e32 v1, 0x800, v65
	v_cvt_f64_f32_e32 v[9:10], v9
	s_or_b32 s0, s1, s0
	v_lshl_or_b32 v19, v17, 12, v18
	v_add_co_ci_u32_e64 v3, s0, 0, v3, s0
	v_cmp_ne_u32_e64 s2, v11, v13
	v_cmp_ne_u32_e64 s0, 0, v15
	ds_read2_b32 v[13:14], v1 offset0:38 offset1:82
	global_store_dword v[5:6], v20, off
	v_cndmask_b32_e64 v11, 0, 1, s2
	v_cndmask_b32_e64 v15, 0, 1, s0
	v_cmp_gt_i32_e64 s0, 31, v16
	v_and_or_b32 v7, 0x1ff, v8, v7
	v_or_b32_e32 v11, v21, v11
	v_lshl_or_b32 v15, v15, 9, 0x7c00
	v_cndmask_b32_e64 v3, 0x7c00, v3, s0
	v_cmp_gt_i32_e64 s0, 1, v17
	v_mul_f64 v[9:10], v[9:10], s[4:5]
	v_cndmask_b32_e64 v11, v19, v11, s0
	v_cmp_ne_u32_e64 s0, 0, v7
	v_lshrrev_b32_e32 v19, 8, v8
	v_and_b32_e32 v21, 7, v11
	v_cndmask_b32_e64 v7, 0, 1, s0
	v_cmp_eq_u32_e64 s0, 0x40f, v16
	s_waitcnt lgkmcnt(0)
	v_lshrrev_b32_e32 v16, 16, v13
	v_cmp_eq_u32_e64 s1, 3, v21
	v_and_or_b32 v7, 0xffe, v19, v7
	v_cndmask_b32_e64 v3, v3, v15, s0
	v_bfe_u32 v15, v8, 20, 11
	v_mul_f16_sdwa v22, v80, v16 dst_sel:DWORD dst_unused:UNUSED_PAD src0_sel:WORD_1 src1_sel:DWORD
	v_cmp_lt_i32_e64 s0, 5, v21
	v_or_b32_e32 v23, 0x1000, v7
	v_and_or_b32 v21, 0x8000, v4, v3
	v_sub_nc_u32_e32 v19, 0x3f1, v15
	v_fmac_f16_e32 v22, v80, v13
	v_lshrrev_b32_e32 v3, 2, v11
	s_or_b32 s0, s1, s0
	v_and_or_b32 v9, 0x1ff, v10, v9
	v_med3_i32 v19, v19, 0, 13
	v_cvt_f32_f16_e32 v4, v22
	v_add_co_ci_u32_e64 v22, s0, 0, v3, s0
	v_cmp_ne_u32_e64 s0, 0, v18
	v_lshrrev_b32_e32 v11, v19, v23
	v_cvt_f64_f32_e32 v[3:4], v4
	v_bfe_u32 v24, v10, 20, 11
	v_lshrrev_b32_e32 v8, 16, v8
	v_cndmask_b32_e64 v18, 0, 1, s0
	v_lshlrev_b32_e32 v19, v19, v11
	v_cmp_gt_i32_e64 s0, 31, v17
	v_lshl_or_b32 v18, v18, 9, 0x7c00
	v_cndmask_b32_e64 v22, 0x7c00, v22, s0
	v_cmp_ne_u32_e64 s0, v19, v23
	v_add_nc_u32_e32 v23, 0xfffffc10, v15
	v_lshrrev_b32_e32 v15, 8, v10
	v_lshrrev_b32_e32 v10, 16, v10
	v_cndmask_b32_e64 v19, 0, 1, s0
	v_cmp_ne_u32_e64 s0, 0, v9
	v_or_b32_e32 v11, v11, v19
	v_cndmask_b32_e64 v9, 0, 1, s0
	v_cmp_eq_u32_e64 s0, 0x40f, v17
	v_lshrrev_b32_e32 v19, 16, v2
	v_mul_f64 v[2:3], v[3:4], s[4:5]
	v_mul_f16_sdwa v4, v80, v13 dst_sel:DWORD dst_unused:UNUSED_PAD src0_sel:WORD_1 src1_sel:DWORD
	v_and_or_b32 v9, 0xffe, v15, v9
	v_cndmask_b32_e64 v17, v22, v18, s0
	v_lshl_or_b32 v18, v23, 12, v7
	v_sub_nc_u32_e32 v15, 0x3f1, v24
	v_cmp_gt_i32_e64 s0, 1, v23
	v_fma_f16 v4, v80, v16, -v4
	v_and_or_b32 v13, 0x8000, v19, v17
	v_and_b32_e32 v17, 0xffff, v21
	v_med3_i32 v15, v15, 0, 13
	v_cndmask_b32_e64 v11, v18, v11, s0
	v_or_b32_e32 v18, 0x1000, v9
	v_cvt_f32_f16_e32 v4, v4
	v_lshl_or_b32 v13, v13, 16, v17
	v_and_b32_e32 v21, 7, v11
	v_lshrrev_b32_e32 v19, v15, v18
	v_lshrrev_b32_e32 v11, 2, v11
	v_cmp_lt_i32_e64 s0, 5, v21
	v_lshlrev_b32_e32 v15, v15, v19
	v_cmp_eq_u32_e64 s1, 3, v21
	v_and_or_b32 v2, 0x1ff, v3, v2
	v_cmp_ne_u32_e64 s2, v15, v18
	s_or_b32 s0, s1, s0
	v_cvt_f64_f32_e32 v[15:16], v4
	v_add_co_ci_u32_e64 v11, s0, 0, v11, s0
	v_cndmask_b32_e64 v17, 0, 1, s2
	v_add_nc_u32_e32 v4, 0xfffffc10, v24
	v_cmp_ne_u32_e64 s0, 0, v7
	v_or_b32_e32 v17, v19, v17
	v_lshl_or_b32 v18, v4, 12, v9
	v_cndmask_b32_e64 v7, 0, 1, s0
	v_cmp_gt_i32_e64 s0, 1, v4
	v_bfe_u32 v19, v3, 20, 11
	v_lshl_or_b32 v7, v7, 9, 0x7c00
	v_cndmask_b32_e64 v17, v18, v17, s0
	v_cmp_ne_u32_e64 s0, 0, v2
	v_lshrrev_b32_e32 v18, 8, v3
	v_and_b32_e32 v20, 7, v17
	v_cndmask_b32_e64 v2, 0, 1, s0
	v_cmp_gt_i32_e64 s0, 31, v23
	v_mul_f64 v[15:16], v[15:16], s[4:5]
	v_cmp_eq_u32_e64 s1, 3, v20
	v_and_or_b32 v2, 0xffe, v18, v2
	v_cndmask_b32_e64 v11, 0x7c00, v11, s0
	v_cmp_eq_u32_e64 s0, 0x40f, v23
	v_sub_nc_u32_e32 v18, 0x3f1, v19
	v_cndmask_b32_e64 v7, v11, v7, s0
	v_cmp_lt_i32_e64 s0, 5, v20
	v_or_b32_e32 v11, 0x1000, v2
	v_med3_i32 v18, v18, 0, 13
	v_and_or_b32 v20, 0x8000, v8, v7
	v_lshrrev_b32_e32 v7, 2, v17
	s_or_b32 s0, s1, s0
	v_lshrrev_b32_e32 v17, 16, v12
	v_lshrrev_b32_e32 v21, v18, v11
	v_and_b32_e32 v20, 0xffff, v20
	v_add_co_ci_u32_e64 v7, s0, 0, v7, s0
	v_cmp_ne_u32_e64 s0, 0, v9
	v_mul_f16_sdwa v8, v79, v17 dst_sel:DWORD dst_unused:UNUSED_PAD src0_sel:WORD_1 src1_sel:DWORD
	v_lshlrev_b32_e32 v18, v18, v21
	v_bfe_u32 v23, v16, 20, 11
	v_cndmask_b32_e64 v9, 0, 1, s0
	v_cmp_gt_i32_e64 s0, 31, v4
	v_fmac_f16_e32 v8, v79, v12
	v_mul_f16_sdwa v12, v79, v12 dst_sel:DWORD dst_unused:UNUSED_PAD src0_sel:WORD_1 src1_sel:DWORD
	v_lshl_or_b32 v9, v9, 9, 0x7c00
	v_cndmask_b32_e64 v22, 0x7c00, v7, s0
	v_and_or_b32 v7, 0x1ff, v16, v15
	v_cmp_ne_u32_e64 s0, v18, v11
	v_cvt_f32_f16_e32 v8, v8
	v_add_nc_u32_e32 v15, 0xfffffc10, v19
	v_lshrrev_b32_e32 v19, 8, v16
	v_cndmask_b32_e64 v11, 0, 1, s0
	v_cmp_ne_u32_e64 s0, 0, v7
	v_cvt_f64_f32_e32 v[7:8], v8
	v_cndmask_b32_e64 v18, 0, 1, s0
	v_cmp_eq_u32_e64 s0, 0x40f, v4
	v_or_b32_e32 v4, v21, v11
	v_lshl_or_b32 v11, v15, 12, v2
	v_and_or_b32 v18, 0xffe, v19, v18
	v_sub_nc_u32_e32 v19, 0x3f1, v23
	v_cndmask_b32_e64 v9, v22, v9, s0
	v_cmp_gt_i32_e64 s0, 1, v15
	v_or_b32_e32 v21, 0x1000, v18
	v_med3_i32 v19, v19, 0, 13
	v_and_or_b32 v9, 0x8000, v10, v9
	v_cndmask_b32_e64 v11, v11, v4, s0
	v_add_co_u32 v4, s0, v5, s6
	v_lshrrev_b32_e32 v10, v19, v21
	v_add_co_ci_u32_e64 v5, s0, s7, v6, s0
	v_mul_f64 v[6:7], v[7:8], s[4:5]
	v_and_b32_e32 v22, 7, v11
	v_lshlrev_b32_e32 v8, v19, v10
	v_lshl_or_b32 v19, v9, 16, v20
	v_fma_f16 v9, v79, v17, -v12
	v_lshrrev_b32_e32 v11, 2, v11
	v_cmp_lt_i32_e64 s0, 5, v22
	v_cmp_ne_u32_e64 s1, v8, v21
	v_add_nc_u32_e32 v12, 0xfffffc10, v23
	v_cvt_f32_f16_e32 v9, v9
	global_store_dword v[4:5], v13, off
	v_cndmask_b32_e64 v8, 0, 1, s1
	v_cmp_eq_u32_e64 s1, 3, v22
	v_lshl_or_b32 v13, v12, 12, v18
	v_or_b32_e32 v10, v10, v8
	s_or_b32 s0, s1, s0
	v_cvt_f64_f32_e32 v[8:9], v9
	v_add_co_ci_u32_e64 v11, s0, 0, v11, s0
	v_cmp_ne_u32_e64 s0, 0, v2
	v_and_or_b32 v6, 0x1ff, v7, v6
	v_lshrrev_b32_e32 v17, 8, v7
	v_bfe_u32 v20, v7, 20, 11
	v_cndmask_b32_e64 v2, 0, 1, s0
	v_cmp_gt_i32_e64 s0, 1, v12
	v_lshl_or_b32 v2, v2, 9, 0x7c00
	v_cndmask_b32_e64 v10, v13, v10, s0
	v_cmp_gt_i32_e64 s0, 31, v15
	v_and_b32_e32 v13, 7, v10
	v_cndmask_b32_e64 v11, 0x7c00, v11, s0
	v_cmp_ne_u32_e64 s0, 0, v6
	v_cmp_eq_u32_e64 s1, 3, v13
	v_cndmask_b32_e64 v6, 0, 1, s0
	v_cmp_eq_u32_e64 s0, 0x40f, v15
	v_lshrrev_b32_e32 v15, 16, v3
	v_and_or_b32 v6, 0xffe, v17, v6
	v_cndmask_b32_e64 v11, v11, v2, s0
	v_cmp_lt_i32_e64 s0, 5, v13
	v_mul_f64 v[2:3], v[8:9], s[4:5]
	v_lshrrev_b32_e32 v8, 2, v10
	v_sub_nc_u32_e32 v17, 0x3f1, v20
	v_or_b32_e32 v9, 0x1000, v6
	s_or_b32 s0, s1, s0
	v_lshrrev_b32_e32 v13, 16, v14
	v_add_co_ci_u32_e64 v8, s0, 0, v8, s0
	v_med3_i32 v10, v17, 0, 13
	v_cmp_ne_u32_e64 s0, 0, v18
	v_mul_f16_sdwa v21, v78, v13 dst_sel:DWORD dst_unused:UNUSED_PAD src0_sel:WORD_1 src1_sel:DWORD
	v_and_or_b32 v11, 0x8000, v15, v11
	v_lshrrev_b32_e32 v15, 16, v16
	v_lshrrev_b32_e32 v18, v10, v9
	v_cndmask_b32_e64 v17, 0, 1, s0
	v_cmp_gt_i32_e64 s0, 31, v12
	v_fmac_f16_e32 v21, v78, v14
	v_add_nc_u32_e32 v16, 0xfffffc10, v20
	v_lshlrev_b32_e32 v10, v10, v18
	v_lshl_or_b32 v17, v17, 9, 0x7c00
	v_cndmask_b32_e64 v8, 0x7c00, v8, s0
	v_cmp_eq_u32_e64 s0, 0x40f, v12
	v_and_or_b32 v2, 0x1ff, v3, v2
	v_bfe_u32 v20, v3, 20, 11
	v_and_b32_e32 v11, 0xffff, v11
	v_mul_f16_sdwa v14, v78, v14 dst_sel:DWORD dst_unused:UNUSED_PAD src0_sel:WORD_1 src1_sel:DWORD
	v_cndmask_b32_e64 v12, v8, v17, s0
	v_cmp_ne_u32_e64 s0, v10, v9
	v_cvt_f32_f16_e32 v8, v21
	v_lshrrev_b32_e32 v17, 8, v3
	v_and_or_b32 v12, 0x8000, v15, v12
	v_cndmask_b32_e64 v10, 0, 1, s0
	v_cmp_ne_u32_e64 s0, 0, v2
	v_cvt_f64_f32_e32 v[8:9], v8
	v_lshl_or_b32 v15, v16, 12, v6
	v_lshl_or_b32 v21, v12, 16, v11
	v_or_b32_e32 v10, v18, v10
	v_cndmask_b32_e64 v2, 0, 1, s0
	v_cmp_gt_i32_e64 s0, 1, v16
	v_and_or_b32 v2, 0xffe, v17, v2
	v_sub_nc_u32_e32 v17, 0x3f1, v20
	v_cndmask_b32_e64 v15, v15, v10, s0
	v_add_co_u32 v4, s0, v4, s8
	v_or_b32_e32 v18, 0x1000, v2
	v_med3_i32 v17, v17, 0, 13
	v_add_co_ci_u32_e64 v5, s0, s9, v5, s0
	v_and_b32_e32 v12, 7, v15
	v_add_co_u32 v10, s0, v4, s6
	v_lshrrev_b32_e32 v22, v17, v18
	v_mul_f64 v[8:9], v[8:9], s[4:5]
	v_add_co_ci_u32_e64 v11, s0, s7, v5, s0
	v_cmp_lt_i32_e64 s0, 5, v12
	v_lshlrev_b32_e32 v17, v17, v22
	v_cmp_eq_u32_e64 s1, 3, v12
	v_fma_f16 v12, v78, v13, -v14
	v_lshrrev_b32_e32 v13, 2, v15
	v_cmp_ne_u32_e64 s2, v17, v18
	s_or_b32 s0, s1, s0
	v_cvt_f32_f16_e32 v12, v12
	v_add_co_ci_u32_e64 v18, s0, 0, v13, s0
	v_cndmask_b32_e64 v14, 0, 1, s2
	v_add_nc_u32_e32 v17, 0xfffffc10, v20
	v_cmp_ne_u32_e64 s0, 0, v6
	v_cvt_f64_f32_e32 v[12:13], v12
	v_or_b32_e32 v20, v22, v14
	v_lshl_or_b32 v22, v17, 12, v2
	v_cndmask_b32_e64 v6, 0, 1, s0
	v_cmp_gt_i32_e64 s0, 1, v17
	v_and_or_b32 v8, 0x1ff, v9, v8
	ds_read2_b32 v[14:15], v65 offset0:176 offset1:220
	v_lshrrev_b32_e32 v23, 8, v9
	v_lshl_or_b32 v6, v6, 9, 0x7c00
	v_cndmask_b32_e64 v20, v22, v20, s0
	v_cmp_gt_i32_e64 s0, 31, v16
	v_bfe_u32 v24, v9, 20, 11
	global_store_dword v[4:5], v19, off
	global_store_dword v[10:11], v21, off
	v_lshrrev_b32_e32 v9, 16, v9
	v_and_b32_e32 v22, 7, v20
	v_cndmask_b32_e64 v18, 0x7c00, v18, s0
	v_cmp_ne_u32_e64 s0, 0, v8
	v_cmp_eq_u32_e64 s1, 3, v22
	v_cndmask_b32_e64 v8, 0, 1, s0
	v_cmp_eq_u32_e64 s0, 0x40f, v16
	v_and_or_b32 v8, 0xffe, v23, v8
	v_cndmask_b32_e64 v16, v18, v6, s0
	v_cmp_lt_i32_e64 s0, 5, v22
	v_lshrrev_b32_e32 v18, 16, v7
	v_mul_f64 v[6:7], v[12:13], s[4:5]
	v_lshrrev_b32_e32 v13, 2, v20
	v_sub_nc_u32_e32 v23, 0x3f1, v24
	s_or_b32 s0, s1, s0
	v_or_b32_e32 v20, 0x1000, v8
	s_waitcnt lgkmcnt(0)
	v_lshrrev_b32_e32 v12, 16, v14
	v_add_co_ci_u32_e64 v13, s0, 0, v13, s0
	v_med3_i32 v22, v23, 0, 13
	v_cmp_ne_u32_e64 s0, 0, v2
	v_mul_f16_sdwa v23, v77, v12 dst_sel:DWORD dst_unused:UNUSED_PAD src0_sel:WORD_1 src1_sel:DWORD
	v_and_or_b32 v16, 0x8000, v18, v16
	v_lshrrev_b32_e32 v25, v22, v20
	v_cndmask_b32_e64 v2, 0, 1, s0
	v_cmp_gt_i32_e64 s0, 31, v17
	v_fmac_f16_e32 v23, v77, v14
	v_and_b32_e32 v16, 0xffff, v16
	v_lshlrev_b32_e32 v18, v22, v25
	v_lshl_or_b32 v2, v2, 9, 0x7c00
	v_cndmask_b32_e64 v13, 0x7c00, v13, s0
	v_cmp_eq_u32_e64 s0, 0x40f, v17
	v_and_or_b32 v6, 0x1ff, v7, v6
	v_cvt_f32_f16_e32 v22, v23
	v_lshrrev_b32_e32 v17, 16, v3
	v_bfe_u32 v23, v7, 20, 11
	v_cndmask_b32_e64 v13, v13, v2, s0
	v_cmp_ne_u32_e64 s0, v18, v20
	v_cvt_f64_f32_e32 v[2:3], v22
	v_add_nc_u32_e32 v20, 0xfffffc10, v24
	v_lshrrev_b32_e32 v22, 8, v7
	v_and_or_b32 v13, 0x8000, v17, v13
	v_cndmask_b32_e64 v18, 0, 1, s0
	v_cmp_ne_u32_e64 s0, 0, v6
	v_mul_f16_sdwa v14, v77, v14 dst_sel:DWORD dst_unused:UNUSED_PAD src0_sel:WORD_1 src1_sel:DWORD
	v_lshrrev_b32_e32 v7, 16, v7
	v_lshl_or_b32 v16, v13, 16, v16
	v_or_b32_e32 v17, v25, v18
	v_cndmask_b32_e64 v6, 0, 1, s0
	v_lshl_or_b32 v18, v20, 12, v8
	v_cmp_gt_i32_e64 s0, 1, v20
	v_and_or_b32 v6, 0xffe, v22, v6
	v_sub_nc_u32_e32 v22, 0x3f1, v23
	v_cndmask_b32_e64 v17, v18, v17, s0
	v_add_co_u32 v4, s0, v10, s8
	v_or_b32_e32 v18, 0x1000, v6
	v_med3_i32 v22, v22, 0, 13
	v_and_b32_e32 v13, 7, v17
	v_mul_f64 v[2:3], v[2:3], s[4:5]
	v_add_co_ci_u32_e64 v5, s0, s9, v11, s0
	v_lshrrev_b32_e32 v19, v22, v18
	v_cmp_lt_i32_e64 s0, 5, v13
	v_cmp_eq_u32_e64 s1, 3, v13
	v_fma_f16 v11, v77, v12, -v14
	v_lshrrev_b32_e32 v12, 2, v17
	v_lshlrev_b32_e32 v10, v22, v19
	v_add_nc_u32_e32 v14, 0xfffffc10, v23
	s_or_b32 s0, s1, s0
	v_cvt_f32_f16_e32 v11, v11
	v_add_co_ci_u32_e64 v17, s0, 0, v12, s0
	v_cmp_ne_u32_e64 s2, v10, v18
	v_cmp_ne_u32_e64 s0, 0, v8
	ds_read2_b32 v[12:13], v1 offset0:126 offset1:170
	global_store_dword v[4:5], v16, off
	v_cndmask_b32_e64 v10, 0, 1, s2
	v_cndmask_b32_e64 v1, 0, 1, s0
	v_cmp_gt_i32_e64 s0, 1, v14
	v_and_or_b32 v2, 0x1ff, v3, v2
	v_bfe_u32 v21, v3, 20, 11
	v_or_b32_e32 v18, v19, v10
	v_cvt_f64_f32_e32 v[10:11], v11
	v_lshl_or_b32 v19, v14, 12, v6
	v_lshl_or_b32 v1, v1, 9, 0x7c00
	v_cndmask_b32_e64 v8, v19, v18, s0
	v_cmp_gt_i32_e64 s0, 31, v20
	v_lshrrev_b32_e32 v19, 8, v3
	v_lshrrev_b32_e32 v3, 16, v3
	v_and_b32_e32 v18, 7, v8
	v_cndmask_b32_e64 v17, 0x7c00, v17, s0
	v_cmp_ne_u32_e64 s0, 0, v2
	v_lshrrev_b32_e32 v8, 2, v8
	v_cmp_eq_u32_e64 s1, 3, v18
	v_cndmask_b32_e64 v2, 0, 1, s0
	v_cmp_eq_u32_e64 s0, 0x40f, v20
	v_sub_nc_u32_e32 v20, 0x3f1, v21
	v_and_or_b32 v19, 0xffe, v19, v2
	v_cndmask_b32_e64 v17, v17, v1, s0
	v_cmp_lt_i32_e64 s0, 5, v18
	v_mul_f64 v[1:2], v[10:11], s[4:5]
	s_waitcnt lgkmcnt(0)
	v_lshrrev_b32_e32 v10, 16, v12
	v_or_b32_e32 v11, 0x1000, v19
	v_med3_i32 v18, v20, 0, 13
	s_or_b32 s0, s1, s0
	v_and_or_b32 v17, 0x8000, v9, v17
	v_add_co_ci_u32_e64 v8, s0, 0, v8, s0
	v_cmp_ne_u32_e64 s0, 0, v6
	v_mul_f16_sdwa v20, v76, v10 dst_sel:DWORD dst_unused:UNUSED_PAD src0_sel:WORD_1 src1_sel:DWORD
	v_lshrrev_b32_e32 v22, v18, v11
	v_and_b32_e32 v17, 0xffff, v17
	v_cndmask_b32_e64 v6, 0, 1, s0
	v_cmp_gt_i32_e64 s0, 31, v14
	v_fmac_f16_e32 v20, v76, v12
	v_lshlrev_b32_e32 v18, v18, v22
	v_lshl_or_b32 v6, v6, 9, 0x7c00
	v_cndmask_b32_e64 v8, 0x7c00, v8, s0
	v_cmp_eq_u32_e64 s0, 0x40f, v14
	v_cvt_f32_f16_e32 v9, v20
	v_and_or_b32 v1, 0x1ff, v2, v1
	v_bfe_u32 v20, v2, 20, 11
	v_add_nc_u32_e32 v14, 0xfffffc10, v21
	v_cndmask_b32_e64 v6, v8, v6, s0
	v_cmp_ne_u32_e64 s0, v18, v11
	v_cvt_f64_f32_e32 v[8:9], v9
	v_lshrrev_b32_e32 v18, 8, v2
	v_lshrrev_b32_e32 v2, 16, v2
	v_and_or_b32 v6, 0x8000, v7, v6
	v_cndmask_b32_e64 v11, 0, 1, s0
	v_cmp_ne_u32_e64 s0, 0, v1
	v_lshl_or_b32 v16, v6, 16, v17
	v_or_b32_e32 v7, v22, v11
	v_cndmask_b32_e64 v1, 0, 1, s0
	v_lshl_or_b32 v11, v14, 12, v19
	v_cmp_gt_i32_e64 s0, 1, v14
	v_and_or_b32 v1, 0xffe, v18, v1
	v_sub_nc_u32_e32 v18, 0x3f1, v20
	v_cndmask_b32_e64 v11, v11, v7, s0
	v_add_co_u32 v4, s0, v4, s6
	v_or_b32_e32 v21, 0x1000, v1
	v_med3_i32 v18, v18, 0, 13
	v_mul_f64 v[6:7], v[8:9], s[4:5]
	v_and_b32_e32 v17, 7, v11
	v_mul_f16_sdwa v9, v76, v12 dst_sel:DWORD dst_unused:UNUSED_PAD src0_sel:WORD_1 src1_sel:DWORD
	v_add_co_ci_u32_e64 v5, s0, s7, v5, s0
	v_lshrrev_b32_e32 v8, v18, v21
	v_cmp_lt_i32_e64 s0, 5, v17
	v_cmp_eq_u32_e64 s1, 3, v17
	v_fma_f16 v9, v76, v10, -v9
	v_lshrrev_b32_e32 v10, 2, v11
	v_lshlrev_b32_e32 v12, v18, v8
	global_store_dword v[4:5], v16, off
	s_or_b32 s0, s1, s0
	v_cvt_f32_f16_e32 v9, v9
	v_add_co_ci_u32_e64 v10, s0, 0, v10, s0
	v_cmp_ne_u32_e64 s2, v12, v21
	v_add_nc_u32_e32 v12, 0xfffffc10, v20
	v_cmp_ne_u32_e64 s0, 0, v19
	v_cndmask_b32_e64 v11, 0, 1, s2
	v_lshl_or_b32 v17, v12, 12, v1
	v_and_or_b32 v6, 0x1ff, v7, v6
	v_cndmask_b32_e64 v18, 0, 1, s0
	v_cmp_gt_i32_e64 s0, 1, v12
	v_or_b32_e32 v11, v8, v11
	v_cvt_f64_f32_e32 v[8:9], v9
	v_bfe_u32 v19, v7, 20, 11
	v_lshl_or_b32 v18, v18, 9, 0x7c00
	v_cndmask_b32_e64 v11, v17, v11, s0
	v_cmp_ne_u32_e64 s0, 0, v6
	v_lshrrev_b32_e32 v17, 8, v7
	v_lshrrev_b32_e32 v7, 16, v7
	v_and_b32_e32 v20, 7, v11
	v_cndmask_b32_e64 v6, 0, 1, s0
	v_cmp_gt_i32_e64 s0, 31, v14
	v_cmp_eq_u32_e64 s1, 3, v20
	v_and_or_b32 v6, 0xffe, v17, v6
	v_cndmask_b32_e64 v10, 0x7c00, v10, s0
	v_cmp_eq_u32_e64 s0, 0x40f, v14
	v_sub_nc_u32_e32 v14, 0x3f1, v19
	v_or_b32_e32 v17, 0x1000, v6
	v_cndmask_b32_e64 v10, v10, v18, s0
	v_cmp_lt_i32_e64 s0, 5, v20
	v_mul_f64 v[8:9], v[8:9], s[4:5]
	v_med3_i32 v14, v14, 0, 13
	v_lshrrev_b32_e32 v18, 16, v15
	v_and_or_b32 v3, 0x8000, v3, v10
	v_lshrrev_b32_e32 v10, 2, v11
	s_or_b32 s0, s1, s0
	v_lshrrev_b32_e32 v20, v14, v17
	v_mul_f16_sdwa v11, v75, v18 dst_sel:DWORD dst_unused:UNUSED_PAD src0_sel:WORD_1 src1_sel:DWORD
	v_and_b32_e32 v3, 0xffff, v3
	v_add_co_ci_u32_e64 v10, s0, 0, v10, s0
	v_cmp_ne_u32_e64 s0, 0, v1
	v_lshlrev_b32_e32 v14, v14, v20
	v_fmac_f16_e32 v11, v75, v15
	v_cndmask_b32_e64 v1, 0, 1, s0
	v_cmp_gt_i32_e64 s0, 31, v12
	v_lshl_or_b32 v1, v1, 9, 0x7c00
	v_cndmask_b32_e64 v21, 0x7c00, v10, s0
	v_cmp_ne_u32_e64 s0, v14, v17
	v_cvt_f32_f16_e32 v10, v11
	v_and_or_b32 v8, 0x1ff, v9, v8
	v_add_nc_u32_e32 v17, 0xfffffc10, v19
	v_lshrrev_b32_e32 v19, 8, v9
	v_cndmask_b32_e64 v14, 0, 1, s0
	v_cmp_eq_u32_e64 s0, 0x40f, v12
	v_cvt_f64_f32_e32 v[10:11], v10
	v_or_b32_e32 v12, v20, v14
	v_cndmask_b32_e64 v1, v21, v1, s0
	v_cmp_ne_u32_e64 s0, 0, v8
	v_bfe_u32 v20, v9, 20, 11
	v_lshl_or_b32 v14, v17, 12, v6
	v_lshrrev_b32_e32 v9, 16, v9
	v_and_or_b32 v1, 0x8000, v2, v1
	v_cndmask_b32_e64 v8, 0, 1, s0
	v_cmp_gt_i32_e64 s0, 1, v17
	v_sub_nc_u32_e32 v2, 0x3f1, v20
	v_lshl_or_b32 v21, v1, 16, v3
	v_and_or_b32 v8, 0xffe, v19, v8
	v_cndmask_b32_e64 v12, v14, v12, s0
	v_med3_i32 v19, v2, 0, 13
	v_add_co_u32 v3, s2, v4, s8
	v_or_b32_e32 v16, 0x1000, v8
	v_and_b32_e32 v14, 7, v12
	v_mul_f64 v[1:2], v[10:11], s[4:5]
	v_add_co_ci_u32_e64 v4, s2, s9, v5, s2
	v_lshrrev_b32_e32 v10, v19, v16
	v_cmp_lt_i32_e64 s0, 5, v14
	v_cmp_eq_u32_e64 s1, 3, v14
	v_lshrrev_b32_e32 v5, 2, v12
	v_mul_f16_sdwa v11, v75, v15 dst_sel:DWORD dst_unused:UNUSED_PAD src0_sel:WORD_1 src1_sel:DWORD
	v_lshlrev_b32_e32 v12, v19, v10
	global_store_dword v[3:4], v21, off
	s_or_b32 s0, s1, s0
	v_add_co_u32 v3, s2, v3, s6
	v_add_co_ci_u32_e64 v14, s0, 0, v5, s0
	v_fma_f16 v11, v75, v18, -v11
	v_cmp_ne_u32_e64 s0, v12, v16
	v_add_nc_u32_e32 v12, 0xfffffc10, v20
	v_add_co_ci_u32_e64 v4, s2, s7, v4, s2
	v_cvt_f32_f16_e32 v5, v11
	v_cndmask_b32_e64 v11, 0, 1, s0
	v_cmp_ne_u32_e64 s0, 0, v6
	v_and_or_b32 v1, 0x1ff, v2, v1
	v_bfe_u32 v16, v2, 20, 11
	v_cvt_f64_f32_e32 v[5:6], v5
	v_or_b32_e32 v10, v10, v11
	v_cndmask_b32_e64 v15, 0, 1, s0
	v_cmp_gt_i32_e64 s0, 31, v17
	v_lshl_or_b32 v11, v12, 12, v8
	v_lshl_or_b32 v15, v15, 9, 0x7c00
	v_cndmask_b32_e64 v14, 0x7c00, v14, s0
	v_cmp_gt_i32_e64 s0, 1, v12
	v_cndmask_b32_e64 v10, v11, v10, s0
	v_cmp_ne_u32_e64 s0, 0, v1
	v_lshrrev_b32_e32 v11, 8, v2
	v_cndmask_b32_e64 v1, 0, 1, s0
	v_cmp_eq_u32_e64 s0, 0x40f, v17
	v_lshrrev_b32_e32 v17, 16, v13
	v_mul_f64 v[5:6], v[5:6], s[4:5]
	v_and_or_b32 v1, 0xffe, v11, v1
	v_cndmask_b32_e64 v14, v14, v15, s0
	v_and_b32_e32 v15, 7, v10
	v_sub_nc_u32_e32 v11, 0x3f1, v16
	v_mul_f16_sdwa v19, v74, v17 dst_sel:DWORD dst_unused:UNUSED_PAD src0_sel:WORD_1 src1_sel:DWORD
	v_or_b32_e32 v18, 0x1000, v1
	v_and_or_b32 v14, 0x8000, v7, v14
	v_cmp_lt_i32_e64 s0, 5, v15
	v_cmp_eq_u32_e64 s1, 3, v15
	v_lshrrev_b32_e32 v7, 2, v10
	v_med3_i32 v11, v11, 0, 13
	v_fmac_f16_e32 v19, v74, v13
	s_or_b32 s0, s1, s0
	v_add_co_ci_u32_e64 v7, s0, 0, v7, s0
	v_cmp_ne_u32_e64 s0, 0, v8
	v_lshrrev_b32_e32 v10, v11, v18
	v_cvt_f32_f16_e32 v15, v19
	v_and_or_b32 v5, 0x1ff, v6, v5
	v_cndmask_b32_e64 v8, 0, 1, s0
	v_cmp_gt_i32_e64 s0, 31, v12
	v_lshlrev_b32_e32 v11, v11, v10
	v_lshl_or_b32 v20, v8, 9, 0x7c00
	v_cndmask_b32_e64 v19, 0x7c00, v7, s0
	v_cvt_f64_f32_e32 v[7:8], v15
	v_cmp_ne_u32_e64 s0, v11, v18
	v_add_nc_u32_e32 v15, 0xfffffc10, v16
	v_lshrrev_b32_e32 v16, 8, v6
	v_bfe_u32 v18, v6, 20, 11
	v_lshrrev_b32_e32 v6, 16, v6
	v_cndmask_b32_e64 v11, 0, 1, s0
	v_cmp_eq_u32_e64 s0, 0x40f, v12
	v_or_b32_e32 v10, v10, v11
	v_cndmask_b32_e64 v12, v19, v20, s0
	v_cmp_ne_u32_e64 s0, 0, v5
	v_lshl_or_b32 v11, v15, 12, v1
	v_and_or_b32 v9, 0x8000, v9, v12
	v_cndmask_b32_e64 v5, 0, 1, s0
	v_cmp_gt_i32_e64 s0, 1, v15
	v_and_b32_e32 v12, 0xffff, v14
	v_mul_f64 v[7:8], v[7:8], s[4:5]
	v_and_or_b32 v5, 0xffe, v16, v5
	v_cndmask_b32_e64 v10, v11, v10, s0
	v_sub_nc_u32_e32 v11, 0x3f1, v18
	v_lshl_or_b32 v19, v9, 16, v12
	v_mul_f16_sdwa v9, v74, v13 dst_sel:DWORD dst_unused:UNUSED_PAD src0_sel:WORD_1 src1_sel:DWORD
	v_or_b32_e32 v16, 0x1000, v5
	v_and_b32_e32 v14, 7, v10
	v_med3_i32 v11, v11, 0, 13
	v_lshrrev_b32_e32 v10, 2, v10
	v_fma_f16 v9, v74, v17, -v9
	global_store_dword v[3:4], v19, off
	v_cmp_lt_i32_e64 s0, 5, v14
	v_lshrrev_b32_e32 v12, v11, v16
	v_cmp_eq_u32_e64 s1, 3, v14
	v_cvt_f32_f16_e32 v14, v9
	v_lshlrev_b32_e32 v11, v11, v12
	s_or_b32 s0, s1, s0
	v_add_co_ci_u32_e64 v13, s0, 0, v10, s0
	v_cmp_ne_u32_e64 s0, v11, v16
	v_and_or_b32 v7, 0x1ff, v8, v7
	v_add_nc_u32_e32 v16, 0xfffffc10, v18
	ds_read2_b32 v[9:10], v0 offset0:8 offset1:52
	v_lshrrev_b32_e32 v18, 8, v8
	v_cndmask_b32_e64 v11, 0, 1, s0
	v_cmp_ne_u32_e64 s0, 0, v7
	v_bfe_u32 v20, v8, 20, 11
	v_or_b32_e32 v17, v12, v11
	v_cndmask_b32_e64 v7, 0, 1, s0
	v_cmp_ne_u32_e64 s0, 0, v1
	v_cvt_f64_f32_e32 v[11:12], v14
	v_lshl_or_b32 v14, v16, 12, v5
	v_and_or_b32 v7, 0xffe, v18, v7
	v_cndmask_b32_e64 v1, 0, 1, s0
	v_cmp_gt_i32_e64 s0, 1, v16
	v_or_b32_e32 v21, 0x1000, v7
	v_lshl_or_b32 v1, v1, 9, 0x7c00
	v_cndmask_b32_e64 v14, v14, v17, s0
	v_cmp_gt_i32_e64 s0, 31, v15
	v_sub_nc_u32_e32 v17, 0x3f1, v20
	s_waitcnt lgkmcnt(0)
	v_lshrrev_b32_e32 v22, 16, v9
	v_add_nc_u32_e32 v20, 0xfffffc10, v20
	v_and_b32_e32 v18, 7, v14
	v_cndmask_b32_e64 v13, 0x7c00, v13, s0
	v_cmp_eq_u32_e64 s0, 0x40f, v15
	v_med3_i32 v17, v17, 0, 13
	v_cmp_eq_u32_e64 s1, 3, v18
	v_cndmask_b32_e64 v13, v13, v1, s0
	v_cmp_lt_i32_e64 s0, 5, v18
	v_lshrrev_b32_e32 v15, v17, v21
	v_lshrrev_b32_e32 v18, 16, v2
	;; [unrolled: 1-line block ×3, first 2 shown]
	v_mul_f64 v[11:12], v[11:12], s[4:5]
	s_or_b32 s0, s1, s0
	v_lshlrev_b32_e32 v14, v17, v15
	v_mul_f16_sdwa v1, v73, v22 dst_sel:DWORD dst_unused:UNUSED_PAD src0_sel:WORD_1 src1_sel:DWORD
	v_add_co_ci_u32_e64 v17, s0, 0, v2, s0
	v_cmp_ne_u32_e64 s0, 0, v5
	v_and_or_b32 v13, 0x8000, v18, v13
	v_fmac_f16_e32 v1, v73, v9
	v_mul_f16_sdwa v9, v73, v9 dst_sel:DWORD dst_unused:UNUSED_PAD src0_sel:WORD_1 src1_sel:DWORD
	v_cndmask_b32_e64 v5, 0, 1, s0
	v_cmp_ne_u32_e64 s0, v14, v21
	v_cvt_f32_f16_e32 v1, v1
	v_fma_f16 v9, v73, v22, -v9
	v_and_b32_e32 v13, 0xffff, v13
	v_lshl_or_b32 v5, v5, 9, 0x7c00
	v_cndmask_b32_e64 v14, 0, 1, s0
	v_cmp_gt_i32_e64 s0, 31, v16
	v_cvt_f64_f32_e32 v[1:2], v1
	v_cvt_f32_f16_e32 v9, v9
	v_or_b32_e32 v14, v15, v14
	v_cndmask_b32_e64 v17, 0x7c00, v17, s0
	v_cmp_eq_u32_e64 s0, 0x40f, v16
	v_lshl_or_b32 v15, v20, 12, v7
	v_and_or_b32 v11, 0x1ff, v12, v11
	v_bfe_u32 v16, v12, 20, 11
	v_cndmask_b32_e64 v5, v17, v5, s0
	v_cmp_gt_i32_e64 s0, 1, v20
	v_and_or_b32 v5, 0x8000, v6, v5
	v_cndmask_b32_e64 v14, v15, v14, s0
	v_cmp_ne_u32_e64 s0, 0, v11
	v_lshrrev_b32_e32 v15, 8, v12
	v_sub_nc_u32_e32 v6, 0x3f1, v16
	v_lshl_or_b32 v21, v5, 16, v13
	v_and_b32_e32 v17, 7, v14
	v_cndmask_b32_e64 v11, 0, 1, s0
	v_mul_f64 v[1:2], v[1:2], s[4:5]
	v_med3_i32 v6, v6, 0, 13
	v_lshrrev_b32_e32 v14, 2, v14
	v_cmp_lt_i32_e64 s0, 5, v17
	v_and_or_b32 v11, 0xffe, v15, v11
	v_cmp_eq_u32_e64 s1, 3, v17
	v_or_b32_e32 v15, 0x1000, v11
	s_or_b32 s0, s1, s0
	v_add_co_ci_u32_e64 v14, s0, 0, v14, s0
	v_lshrrev_b32_e32 v17, v6, v15
	v_cmp_gt_i32_e64 s0, 31, v20
	v_lshlrev_b32_e32 v18, v6, v17
	v_cndmask_b32_e64 v22, 0x7c00, v14, s0
	v_cvt_f64_f32_e32 v[5:6], v9
	v_and_or_b32 v1, 0x1ff, v2, v1
	v_lshrrev_b32_e32 v14, 8, v2
	v_cmp_ne_u32_e64 s0, v18, v15
	v_add_nc_u32_e32 v18, 0xfffffc10, v16
	v_bfe_u32 v15, v2, 20, 11
	v_lshrrev_b32_e32 v2, 16, v2
	v_cndmask_b32_e64 v9, 0, 1, s0
	v_cmp_ne_u32_e64 s0, 0, v7
	v_lshl_or_b32 v13, v18, 12, v11
	v_sub_nc_u32_e32 v16, 0x3f1, v15
	v_or_b32_e32 v9, v17, v9
	v_cndmask_b32_e64 v7, 0, 1, s0
	v_cmp_ne_u32_e64 s0, 0, v1
	v_med3_i32 v16, v16, 0, 13
	v_lshl_or_b32 v7, v7, 9, 0x7c00
	v_cndmask_b32_e64 v1, 0, 1, s0
	v_cmp_gt_i32_e64 s0, 1, v18
	v_mul_f64 v[5:6], v[5:6], s[4:5]
	v_and_or_b32 v1, 0xffe, v14, v1
	v_cndmask_b32_e64 v9, v13, v9, s0
	v_add_nc_u32_e32 v13, 0xa00, v65
	v_cmp_eq_u32_e64 s0, 0x40f, v20
	v_or_b32_e32 v23, 0x1000, v1
	v_and_b32_e32 v17, 7, v9
	ds_read2_b32 v[13:14], v13 offset0:86 offset1:130
	v_cndmask_b32_e64 v20, v22, v7, s0
	v_lshrrev_b32_e32 v9, 2, v9
	v_lshrrev_b32_e32 v22, 16, v8
	v_cmp_lt_i32_e64 s0, 5, v17
	v_cmp_eq_u32_e64 s1, 3, v17
	v_lshrrev_b32_e32 v17, v16, v23
	v_add_co_u32 v7, s2, v3, s8
	v_and_or_b32 v20, 0x8000, v22, v20
	s_or_b32 s0, s1, s0
	v_lshlrev_b32_e32 v16, v16, v17
	v_add_co_ci_u32_e64 v9, s0, 0, v9, s0
	v_and_or_b32 v5, 0x1ff, v6, v5
	v_lshrrev_b32_e32 v24, 8, v6
	v_cmp_ne_u32_e64 s0, v16, v23
	v_add_nc_u32_e32 v23, 0xfffffc10, v15
	v_bfe_u32 v25, v6, 20, 11
	v_and_b32_e32 v20, 0xffff, v20
	s_waitcnt lgkmcnt(0)
	v_lshrrev_b32_e32 v22, 16, v13
	v_cndmask_b32_e64 v16, 0, 1, s0
	v_cmp_ne_u32_e64 s0, 0, v11
	v_add_co_ci_u32_e64 v8, s2, s9, v4, s2
	v_mul_f16_sdwa v15, v72, v22 dst_sel:DWORD dst_unused:UNUSED_PAD src0_sel:WORD_1 src1_sel:DWORD
	v_or_b32_e32 v16, v17, v16
	v_cndmask_b32_e64 v11, 0, 1, s0
	v_cmp_ne_u32_e64 s0, 0, v5
	v_lshl_or_b32 v17, v23, 12, v1
	v_fmac_f16_e32 v15, v72, v13
	global_store_dword v[7:8], v21, off
	v_lshl_or_b32 v11, v11, 9, 0x7c00
	v_cndmask_b32_e64 v5, 0, 1, s0
	v_cmp_gt_i32_e64 s0, 1, v23
	v_cvt_f32_f16_e32 v15, v15
	v_lshrrev_b32_e32 v6, 16, v6
	v_and_or_b32 v5, 0xffe, v24, v5
	v_cndmask_b32_e64 v17, v17, v16, s0
	v_cmp_gt_i32_e64 s0, 31, v18
	v_sub_nc_u32_e32 v24, 0x3f1, v25
	v_cvt_f64_f32_e32 v[15:16], v15
	v_or_b32_e32 v27, 0x1000, v5
	v_and_b32_e32 v26, 7, v17
	v_cndmask_b32_e64 v9, 0x7c00, v9, s0
	v_cmp_eq_u32_e64 s0, 0x40f, v18
	v_med3_i32 v24, v24, 0, 13
	v_cmp_eq_u32_e64 s1, 3, v26
	v_cndmask_b32_e64 v9, v9, v11, s0
	v_lshrrev_b32_e32 v11, 16, v12
	v_mul_f16_sdwa v12, v72, v13 dst_sel:DWORD dst_unused:UNUSED_PAD src0_sel:WORD_1 src1_sel:DWORD
	v_lshrrev_b32_e32 v13, v24, v27
	v_cmp_lt_i32_e64 s0, 5, v26
	v_and_or_b32 v9, 0x8000, v11, v9
	v_lshrrev_b32_e32 v11, 2, v17
	v_lshlrev_b32_e32 v17, v24, v13
	s_or_b32 s0, s1, s0
	v_fma_f16 v12, v72, v22, -v12
	v_add_nc_u32_e32 v24, 0xfffffc10, v25
	v_add_co_ci_u32_e64 v18, s0, 0, v11, s0
	v_cmp_ne_u32_e64 s0, v17, v27
	v_cvt_f32_f16_e32 v22, v12
	v_mul_f64 v[11:12], v[15:16], s[4:5]
	v_cndmask_b32_e64 v17, 0, 1, s0
	v_cmp_ne_u32_e64 s0, 0, v1
	v_cvt_f64_f32_e32 v[15:16], v22
	v_or_b32_e32 v13, v13, v17
	v_cndmask_b32_e64 v1, 0, 1, s0
	v_cmp_gt_i32_e64 s0, 31, v23
	v_lshl_or_b32 v17, v24, 12, v5
	v_lshl_or_b32 v1, v1, 9, 0x7c00
	v_cndmask_b32_e64 v18, 0x7c00, v18, s0
	v_cmp_gt_i32_e64 s0, 1, v24
	v_cndmask_b32_e64 v13, v17, v13, s0
	v_cmp_eq_u32_e64 s0, 0x40f, v23
	v_and_or_b32 v4, 0x1ff, v12, v11
	v_lshl_or_b32 v17, v9, 16, v20
	v_lshrrev_b32_e32 v11, 8, v12
	v_and_b32_e32 v3, 7, v13
	v_cndmask_b32_e64 v1, v18, v1, s0
	v_cmp_ne_u32_e64 s2, 0, v4
	v_cmp_lt_i32_e64 s0, 5, v3
	v_and_or_b32 v9, 0x8000, v2, v1
	v_mul_f64 v[1:2], v[15:16], s[4:5]
	v_cmp_eq_u32_e64 s1, 3, v3
	v_lshrrev_b32_e32 v3, 2, v13
	v_cndmask_b32_e64 v4, 0, 1, s2
	v_bfe_u32 v13, v12, 20, 11
	v_lshrrev_b32_e32 v15, 16, v10
	s_or_b32 s0, s1, s0
	v_and_b32_e32 v9, 0xffff, v9
	v_add_co_ci_u32_e64 v3, s0, 0, v3, s0
	v_and_or_b32 v11, 0xffe, v11, v4
	v_sub_nc_u32_e32 v4, 0x3f1, v13
	v_cmp_ne_u32_e64 s0, 0, v5
	v_mul_f16_sdwa v18, v71, v15 dst_sel:DWORD dst_unused:UNUSED_PAD src0_sel:WORD_1 src1_sel:DWORD
	v_add_nc_u32_e32 v13, 0xfffffc10, v13
	v_or_b32_e32 v16, 0x1000, v11
	v_med3_i32 v4, v4, 0, 13
	v_cndmask_b32_e64 v5, 0, 1, s0
	v_cmp_gt_i32_e64 s0, 31, v24
	v_fmac_f16_e32 v18, v71, v10
	v_mul_f16_sdwa v10, v71, v10 dst_sel:DWORD dst_unused:UNUSED_PAD src0_sel:WORD_1 src1_sel:DWORD
	v_lshrrev_b32_e32 v19, v4, v16
	v_lshl_or_b32 v5, v5, 9, 0x7c00
	v_cndmask_b32_e64 v3, 0x7c00, v3, s0
	v_and_or_b32 v1, 0x1ff, v2, v1
	v_cmp_eq_u32_e64 s0, 0x40f, v24
	v_lshlrev_b32_e32 v20, v4, v19
	v_bfe_u32 v21, v2, 20, 11
	v_fma_f16 v10, v71, v15, -v10
	v_lshrrev_b32_e32 v12, 16, v12
	v_cndmask_b32_e64 v5, v3, v5, s0
	v_cmp_ne_u32_e64 s0, 0, v1
	v_cvt_f32_f16_e32 v3, v18
	v_lshrrev_b32_e32 v18, 8, v2
	v_cvt_f32_f16_e32 v10, v10
	v_and_or_b32 v22, 0x8000, v6, v5
	v_cndmask_b32_e64 v1, 0, 1, s0
	v_cmp_ne_u32_e64 s0, v20, v16
	v_cvt_f64_f32_e32 v[3:4], v3
	v_lshl_or_b32 v22, v22, 16, v9
	v_and_or_b32 v1, 0xffe, v18, v1
	v_cndmask_b32_e64 v16, 0, 1, s0
	v_sub_nc_u32_e32 v18, 0x3f1, v21
	v_cmp_gt_i32_e64 s0, 1, v13
	v_or_b32_e32 v20, 0x1000, v1
	v_or_b32_e32 v16, v19, v16
	v_lshl_or_b32 v19, v13, 12, v11
	v_med3_i32 v18, v18, 0, 13
	v_cndmask_b32_e64 v16, v19, v16, s0
	v_lshrrev_b32_e32 v19, v18, v20
	v_add_co_u32 v5, s0, v7, s6
	v_add_co_ci_u32_e64 v6, s0, s7, v8, s0
	v_lshlrev_b32_e32 v18, v18, v19
	v_and_b32_e32 v9, 7, v16
	v_mul_f64 v[3:4], v[3:4], s[4:5]
	v_add_co_u32 v7, s0, v5, s8
	v_cmp_ne_u32_e64 s1, v18, v20
	v_add_co_ci_u32_e64 v8, s0, s9, v6, s0
	v_cmp_lt_i32_e64 s0, 5, v9
	v_lshrrev_b32_e32 v16, 2, v16
	v_cndmask_b32_e64 v15, 0, 1, s1
	v_cmp_eq_u32_e64 s1, 3, v9
	v_add_nc_u32_e32 v18, 0xfffffc10, v21
	v_cvt_f64_f32_e32 v[9:10], v10
	global_store_dword v[5:6], v17, off
	global_store_dword v[7:8], v22, off
	v_or_b32_e32 v15, v19, v15
	s_or_b32 s0, s1, s0
	v_lshl_or_b32 v19, v18, 12, v1
	v_add_co_ci_u32_e64 v16, s0, 0, v16, s0
	v_cmp_ne_u32_e64 s0, 0, v11
	v_and_or_b32 v3, 0x1ff, v4, v3
	v_cndmask_b32_e64 v11, 0, 1, s0
	v_cmp_gt_i32_e64 s0, 1, v18
	v_lshrrev_b32_e32 v20, 8, v4
	v_bfe_u32 v21, v4, 20, 11
	v_lshl_or_b32 v11, v11, 9, 0x7c00
	v_cndmask_b32_e64 v15, v19, v15, s0
	v_cmp_gt_i32_e64 s0, 31, v13
	v_mul_f64 v[9:10], v[9:10], s[4:5]
	v_and_b32_e32 v19, 7, v15
	v_cndmask_b32_e64 v16, 0x7c00, v16, s0
	v_cmp_ne_u32_e64 s0, 0, v3
	v_lshrrev_b32_e32 v15, 2, v15
	v_cmp_eq_u32_e64 s1, 3, v19
	v_cndmask_b32_e64 v3, 0, 1, s0
	v_cmp_eq_u32_e64 s0, 0x40f, v13
	v_sub_nc_u32_e32 v13, 0x3f1, v21
	v_and_or_b32 v3, 0xffe, v20, v3
	v_cndmask_b32_e64 v11, v16, v11, s0
	v_cmp_lt_i32_e64 s0, 5, v19
	v_med3_i32 v13, v13, 0, 13
	v_lshrrev_b32_e32 v16, 16, v14
	v_or_b32_e32 v19, 0x1000, v3
	v_and_or_b32 v11, 0x8000, v12, v11
	s_or_b32 s0, s1, s0
	v_add_co_ci_u32_e64 v15, s0, 0, v15, s0
	v_cmp_ne_u32_e64 s0, 0, v1
	v_lshrrev_b32_e32 v23, v13, v19
	v_mul_f16_sdwa v20, v70, v16 dst_sel:DWORD dst_unused:UNUSED_PAD src0_sel:WORD_1 src1_sel:DWORD
	v_and_or_b32 v9, 0x1ff, v10, v9
	v_and_b32_e32 v11, 0xffff, v11
	v_cndmask_b32_e64 v1, 0, 1, s0
	v_cmp_gt_i32_e64 s0, 31, v18
	v_lshlrev_b32_e32 v12, v13, v23
	v_fmac_f16_e32 v20, v70, v14
	v_lshl_or_b32 v1, v1, 9, 0x7c00
	v_cndmask_b32_e64 v15, 0x7c00, v15, s0
	v_cmp_eq_u32_e64 s0, 0x40f, v18
	v_cvt_f32_f16_e32 v13, v20
	v_lshrrev_b32_e32 v18, 16, v2
	v_bfe_u32 v20, v10, 20, 11
	v_cndmask_b32_e64 v15, v15, v1, s0
	v_cmp_ne_u32_e64 s0, v12, v19
	v_cvt_f64_f32_e32 v[1:2], v13
	v_add_nc_u32_e32 v13, 0xfffffc10, v21
	v_lshrrev_b32_e32 v19, 8, v10
	v_and_or_b32 v15, 0x8000, v18, v15
	v_cndmask_b32_e64 v12, 0, 1, s0
	v_cmp_ne_u32_e64 s0, 0, v9
	v_lshl_or_b32 v18, v13, 12, v3
	v_lshl_or_b32 v11, v15, 16, v11
	v_or_b32_e32 v12, v23, v12
	v_cndmask_b32_e64 v9, 0, 1, s0
	v_cmp_gt_i32_e64 s0, 1, v13
	v_and_or_b32 v9, 0xffe, v19, v9
	v_sub_nc_u32_e32 v19, 0x3f1, v20
	v_cndmask_b32_e64 v12, v18, v12, s0
	v_add_co_u32 v5, s0, v7, s6
	v_or_b32_e32 v18, 0x1000, v9
	v_med3_i32 v19, v19, 0, 13
	v_and_b32_e32 v15, 7, v12
	v_mul_f64 v[1:2], v[1:2], s[4:5]
	v_add_co_ci_u32_e64 v6, s0, s7, v8, s0
	v_lshrrev_b32_e32 v17, v19, v18
	v_cmp_lt_i32_e64 s0, 5, v15
	v_cmp_eq_u32_e64 s1, 3, v15
	v_mul_f16_sdwa v8, v70, v14 dst_sel:DWORD dst_unused:UNUSED_PAD src0_sel:WORD_1 src1_sel:DWORD
	v_lshrrev_b32_e32 v12, 2, v12
	v_lshlrev_b32_e32 v7, v19, v17
	v_add_nc_u32_e32 v14, 0xfffffc10, v20
	s_or_b32 s0, s1, s0
	v_fma_f16 v8, v70, v16, -v8
	v_add_co_ci_u32_e64 v12, s0, 0, v12, s0
	v_cmp_ne_u32_e64 s2, v7, v18
	v_cmp_ne_u32_e64 s0, 0, v3
	v_cvt_f32_f16_e32 v8, v8
	v_lshl_or_b32 v16, v14, 12, v9
	global_store_dword v[5:6], v11, off
	v_cndmask_b32_e64 v7, 0, 1, s2
	v_cndmask_b32_e64 v3, 0, 1, s0
	v_cmp_gt_i32_e64 s0, 1, v14
	v_bfe_u32 v19, v2, 20, 11
	v_lshrrev_b32_e32 v18, 8, v2
	v_or_b32_e32 v15, v17, v7
	v_cvt_f64_f32_e32 v[7:8], v8
	v_lshl_or_b32 v3, v3, 9, 0x7c00
	v_cndmask_b32_e64 v15, v16, v15, s0
	v_and_or_b32 v16, 0x1ff, v2, v1
	v_cmp_gt_i32_e64 s0, 31, v13
	ds_read2_b32 v[0:1], v0 offset0:96 offset1:140
	v_and_b32_e32 v17, 7, v15
	v_lshrrev_b32_e32 v15, 2, v15
	v_cndmask_b32_e64 v12, 0x7c00, v12, s0
	v_cmp_ne_u32_e64 s0, 0, v16
	v_cmp_eq_u32_e64 s1, 3, v17
	v_cndmask_b32_e64 v16, 0, 1, s0
	v_cmp_eq_u32_e64 s0, 0x40f, v13
	v_lshrrev_b32_e32 v13, 16, v4
	v_and_or_b32 v16, 0xffe, v18, v16
	v_cndmask_b32_e64 v12, v12, v3, s0
	v_sub_nc_u32_e32 v3, 0x3f1, v19
	v_cmp_lt_i32_e64 s0, 5, v17
	v_or_b32_e32 v17, 0x1000, v16
	s_waitcnt lgkmcnt(0)
	v_lshrrev_b32_e32 v20, 16, v0
	v_med3_i32 v18, v3, 0, 13
	v_mul_f64 v[3:4], v[7:8], s[4:5]
	s_or_b32 s0, s1, s0
	v_and_or_b32 v12, 0x8000, v13, v12
	v_add_co_ci_u32_e64 v7, s0, 0, v15, s0
	v_cmp_ne_u32_e64 s0, 0, v9
	v_lshrrev_b32_e32 v9, v18, v17
	v_mul_f16_sdwa v15, v69, v20 dst_sel:DWORD dst_unused:UNUSED_PAD src0_sel:WORD_1 src1_sel:DWORD
	v_and_b32_e32 v12, 0xffff, v12
	v_cndmask_b32_e64 v8, 0, 1, s0
	v_cmp_gt_i32_e64 s0, 31, v14
	v_lshlrev_b32_e32 v13, v18, v9
	v_fmac_f16_e32 v15, v69, v0
	v_mul_f16_sdwa v0, v69, v0 dst_sel:DWORD dst_unused:UNUSED_PAD src0_sel:WORD_1 src1_sel:DWORD
	v_lshl_or_b32 v8, v8, 9, 0x7c00
	v_cndmask_b32_e64 v7, 0x7c00, v7, s0
	v_cmp_eq_u32_e64 s0, 0x40f, v14
	v_add_nc_u32_e32 v14, 0xfffffc10, v19
	v_fma_f16 v0, v69, v20, -v0
	v_cndmask_b32_e64 v7, v7, v8, s0
	v_cmp_ne_u32_e64 s0, v13, v17
	v_and_or_b32 v3, 0x1ff, v4, v3
	v_lshrrev_b32_e32 v8, 16, v10
	v_cvt_f32_f16_e32 v10, v15
	v_bfe_u32 v17, v4, 20, 11
	v_cndmask_b32_e64 v13, 0, 1, s0
	v_cmp_ne_u32_e64 s0, 0, v3
	v_and_or_b32 v15, 0x8000, v8, v7
	v_cvt_f64_f32_e32 v[7:8], v10
	v_lshl_or_b32 v10, v14, 12, v16
	v_or_b32_e32 v9, v9, v13
	v_cndmask_b32_e64 v3, 0, 1, s0
	v_lshrrev_b32_e32 v13, 8, v4
	v_cmp_gt_i32_e64 s0, 1, v14
	v_cvt_f32_f16_e32 v0, v0
	v_lshrrev_b32_e32 v4, 16, v4
	v_and_or_b32 v13, 0xffe, v13, v3
	v_sub_nc_u32_e32 v3, 0x3f1, v17
	v_cndmask_b32_e64 v9, v10, v9, s0
	v_lshl_or_b32 v10, v15, 16, v12
	v_add_co_u32 v5, s0, v5, s8
	v_or_b32_e32 v12, 0x1000, v13
	v_med3_i32 v3, v3, 0, 13
	v_and_b32_e32 v11, 7, v9
	v_add_co_ci_u32_e64 v6, s0, s9, v6, s0
	v_lshrrev_b32_e32 v9, 2, v9
	v_lshrrev_b32_e32 v15, v3, v12
	v_cmp_lt_i32_e64 s0, 5, v11
	v_cmp_eq_u32_e64 s1, 3, v11
	v_mul_f64 v[7:8], v[7:8], s[4:5]
	v_add_nc_u32_e32 v17, 0xfffffc10, v17
	v_lshlrev_b32_e32 v3, v3, v15
	global_store_dword v[5:6], v10, off
	s_or_b32 s0, s1, s0
	v_add_co_ci_u32_e64 v18, s0, 0, v9, s0
	v_cmp_ne_u32_e64 s0, v3, v12
	v_add_nc_u32_e32 v9, 0xc00, v65
	v_cvt_f64_f32_e32 v[11:12], v0
	v_cndmask_b32_e64 v3, 0, 1, s0
	v_cmp_ne_u32_e64 s0, 0, v16
	ds_read2_b32 v[9:10], v9 offset0:46 offset1:90
	v_or_b32_e32 v0, v15, v3
	v_cndmask_b32_e64 v16, 0, 1, s0
	v_cmp_gt_i32_e64 s0, 31, v14
	v_lshl_or_b32 v3, v17, 12, v13
	v_and_or_b32 v7, 0x1ff, v8, v7
	v_lshl_or_b32 v16, v16, 9, 0x7c00
	v_cndmask_b32_e64 v15, 0x7c00, v18, s0
	v_cmp_gt_i32_e64 s0, 1, v17
	v_bfe_u32 v18, v8, 20, 11
	v_cndmask_b32_e64 v0, v3, v0, s0
	v_cmp_ne_u32_e64 s0, 0, v7
	v_lshrrev_b32_e32 v7, 8, v8
	v_sub_nc_u32_e32 v19, 0x3f1, v18
	s_waitcnt lgkmcnt(0)
	v_lshrrev_b32_e32 v20, 16, v9
	v_add_nc_u32_e32 v18, 0xfffffc10, v18
	v_cndmask_b32_e64 v3, 0, 1, s0
	v_cmp_eq_u32_e64 s0, 0x40f, v14
	v_lshrrev_b32_e32 v8, 16, v8
	v_cndmask_b32_e64 v14, v15, v16, s0
	v_and_b32_e32 v15, 7, v0
	v_and_or_b32 v16, 0xffe, v7, v3
	v_lshrrev_b32_e32 v7, 16, v2
	v_mul_f64 v[2:3], v[11:12], s[4:5]
	v_lshrrev_b32_e32 v0, 2, v0
	v_cmp_lt_i32_e64 s0, 5, v15
	v_cmp_eq_u32_e64 s1, 3, v15
	v_or_b32_e32 v21, 0x1000, v16
	v_med3_i32 v11, v19, 0, 13
	v_mul_f16_sdwa v12, v68, v20 dst_sel:DWORD dst_unused:UNUSED_PAD src0_sel:WORD_1 src1_sel:DWORD
	v_and_or_b32 v7, 0x8000, v7, v14
	s_or_b32 s0, s1, s0
	v_add_co_ci_u32_e64 v0, s0, 0, v0, s0
	v_lshrrev_b32_e32 v14, v11, v21
	v_cmp_ne_u32_e64 s0, 0, v13
	v_fmac_f16_e32 v12, v68, v9
	v_and_b32_e32 v7, 0xffff, v7
	v_lshlrev_b32_e32 v15, v11, v14
	v_cndmask_b32_e64 v13, 0, 1, s0
	v_cmp_gt_i32_e64 s0, 31, v17
	v_cvt_f32_f16_e32 v12, v12
	v_and_or_b32 v2, 0x1ff, v3, v2
	v_lshl_or_b32 v13, v13, 9, 0x7c00
	v_cndmask_b32_e64 v0, 0x7c00, v0, s0
	v_cmp_ne_u32_e64 s0, v15, v21
	v_cvt_f64_f32_e32 v[11:12], v12
	v_cndmask_b32_e64 v15, 0, 1, s0
	v_cmp_eq_u32_e64 s0, 0x40f, v17
	v_bfe_u32 v17, v3, 20, 11
	v_cndmask_b32_e64 v0, v0, v13, s0
	v_cmp_ne_u32_e64 s0, 0, v2
	v_or_b32_e32 v13, v14, v15
	v_lshrrev_b32_e32 v15, 8, v3
	v_lshl_or_b32 v14, v18, 12, v16
	v_and_or_b32 v0, 0x8000, v4, v0
	v_cndmask_b32_e64 v2, 0, 1, s0
	v_cmp_gt_i32_e64 s0, 1, v18
	v_sub_nc_u32_e32 v4, 0x3f1, v17
	v_lshl_or_b32 v21, v0, 16, v7
	v_and_or_b32 v2, 0xffe, v15, v2
	v_cndmask_b32_e64 v13, v14, v13, s0
	v_mul_f64 v[11:12], v[11:12], s[4:5]
	v_med3_i32 v19, v4, 0, 13
	v_mul_f16_sdwa v4, v68, v9 dst_sel:DWORD dst_unused:UNUSED_PAD src0_sel:WORD_1 src1_sel:DWORD
	v_or_b32_e32 v15, 0x1000, v2
	v_and_b32_e32 v14, 7, v13
	v_fma_f16 v7, v68, v20, -v4
	v_lshrrev_b32_e32 v0, v19, v15
	v_cmp_lt_i32_e64 s0, 5, v14
	v_cmp_eq_u32_e64 s1, 3, v14
	v_add_co_u32 v4, s2, v5, s6
	v_add_co_ci_u32_e64 v5, s2, s7, v6, s2
	v_lshrrev_b32_e32 v6, 2, v13
	v_lshlrev_b32_e32 v9, v19, v0
	s_or_b32 s0, s1, s0
	v_cvt_f32_f16_e32 v7, v7
	v_add_nc_u32_e32 v14, 0xfffffc10, v17
	v_add_co_ci_u32_e64 v13, s0, 0, v6, s0
	v_cmp_ne_u32_e64 s0, v9, v15
	v_and_or_b32 v11, 0x1ff, v12, v11
	v_cvt_f64_f32_e32 v[6:7], v7
	v_lshrrev_b32_e32 v15, 8, v12
	v_bfe_u32 v17, v12, 20, 11
	v_cndmask_b32_e64 v9, 0, 1, s0
	v_cmp_gt_i32_e64 s0, 31, v18
	v_lshrrev_b32_e32 v12, 16, v12
	v_or_b32_e32 v0, v0, v9
	v_cndmask_b32_e64 v13, 0x7c00, v13, s0
	v_cmp_ne_u32_e64 s0, 0, v11
	v_lshl_or_b32 v9, v14, 12, v2
	v_cndmask_b32_e64 v11, 0, 1, s0
	v_cmp_ne_u32_e64 s0, 0, v16
	v_and_or_b32 v11, 0xffe, v15, v11
	v_cndmask_b32_e64 v16, 0, 1, s0
	v_cmp_gt_i32_e64 s0, 1, v14
	v_mul_f64 v[6:7], v[6:7], s[4:5]
	v_or_b32_e32 v20, 0x1000, v11
	v_lshl_or_b32 v15, v16, 9, 0x7c00
	v_cndmask_b32_e64 v0, v9, v0, s0
	v_sub_nc_u32_e32 v9, 0x3f1, v17
	v_cmp_eq_u32_e64 s0, 0x40f, v18
	v_lshrrev_b32_e32 v16, 16, v1
	v_add_nc_u32_e32 v17, 0xfffffc10, v17
	v_and_b32_e32 v19, 7, v0
	v_med3_i32 v9, v9, 0, 13
	v_cndmask_b32_e64 v13, v13, v15, s0
	v_lshrrev_b32_e32 v0, 2, v0
	v_mul_f16_sdwa v22, v67, v16 dst_sel:DWORD dst_unused:UNUSED_PAD src0_sel:WORD_1 src1_sel:DWORD
	v_cmp_lt_i32_e64 s0, 5, v19
	v_lshrrev_b32_e32 v15, v9, v20
	v_cmp_eq_u32_e64 s1, 3, v19
	v_and_or_b32 v13, 0x8000, v8, v13
	v_fmac_f16_e32 v22, v67, v1
	v_mul_f16_sdwa v1, v67, v1 dst_sel:DWORD dst_unused:UNUSED_PAD src0_sel:WORD_1 src1_sel:DWORD
	v_lshlrev_b32_e32 v8, v9, v15
	s_or_b32 s0, s1, s0
	v_and_or_b32 v6, 0x1ff, v7, v6
	v_add_co_ci_u32_e64 v0, s0, 0, v0, s0
	v_cmp_ne_u32_e64 s0, v8, v20
	v_cvt_f32_f16_e32 v9, v22
	v_bfe_u32 v19, v7, 20, 11
	v_and_b32_e32 v13, 0xffff, v13
	v_fma_f16 v1, v67, v16, -v1
	v_cndmask_b32_e64 v18, 0, 1, s0
	v_cmp_ne_u32_e64 s0, 0, v2
	v_cvt_f64_f32_e32 v[8:9], v9
	v_or_b32_e32 v15, v15, v18
	v_cndmask_b32_e64 v2, 0, 1, s0
	v_cmp_gt_i32_e64 s0, 31, v14
	v_lshl_or_b32 v18, v17, 12, v11
	v_lshl_or_b32 v2, v2, 9, 0x7c00
	v_cndmask_b32_e64 v0, 0x7c00, v0, s0
	v_cmp_gt_i32_e64 s0, 1, v17
	v_cndmask_b32_e64 v15, v18, v15, s0
	v_cmp_ne_u32_e64 s0, 0, v6
	v_lshrrev_b32_e32 v18, 8, v7
	v_and_b32_e32 v20, 7, v15
	v_cndmask_b32_e64 v6, 0, 1, s0
	v_cmp_eq_u32_e64 s0, 0x40f, v14
	v_sub_nc_u32_e32 v14, 0x3f1, v19
	v_cmp_eq_u32_e64 s1, 3, v20
	v_and_or_b32 v6, 0xffe, v18, v6
	v_cndmask_b32_e64 v0, v0, v2, s0
	v_cmp_lt_i32_e64 s0, 5, v20
	v_lshrrev_b32_e32 v18, 16, v3
	v_mul_f64 v[2:3], v[8:9], s[4:5]
	v_med3_i32 v9, v14, 0, 13
	v_lshrrev_b32_e32 v14, 2, v15
	v_or_b32_e32 v8, 0x1000, v6
	s_or_b32 s0, s1, s0
	v_and_or_b32 v0, 0x8000, v18, v0
	v_add_co_ci_u32_e64 v14, s0, 0, v14, s0
	v_lshrrev_b32_e32 v15, v9, v8
	v_cmp_ne_u32_e64 s0, 0, v11
	v_lshl_or_b32 v13, v0, 16, v13
	v_lshlrev_b32_e32 v0, v9, v15
	v_cndmask_b32_e64 v11, 0, 1, s0
	v_cmp_gt_i32_e64 s0, 31, v17
	v_lshl_or_b32 v11, v11, 9, 0x7c00
	v_cndmask_b32_e64 v9, 0x7c00, v14, s0
	v_cmp_ne_u32_e64 s0, v0, v8
	v_and_or_b32 v2, 0x1ff, v3, v2
	v_add_nc_u32_e32 v14, 0xfffffc10, v19
	v_bfe_u32 v16, v3, 20, 11
	v_cndmask_b32_e64 v0, 0, 1, s0
	v_cmp_eq_u32_e64 s0, 0x40f, v17
	v_or_b32_e32 v8, v15, v0
	v_cndmask_b32_e64 v11, v9, v11, s0
	v_cmp_ne_u32_e64 s0, 0, v2
	v_cvt_f32_f16_e32 v0, v1
	v_lshl_or_b32 v9, v14, 12, v6
	v_lshrrev_b32_e32 v15, 8, v3
	v_and_or_b32 v23, 0x8000, v12, v11
	v_cndmask_b32_e64 v2, 0, 1, s0
	v_cmp_gt_i32_e64 s0, 1, v14
	v_cvt_f64_f32_e32 v[0:1], v0
	v_lshrrev_b32_e32 v3, 16, v3
	v_and_or_b32 v2, 0xffe, v15, v2
	v_cndmask_b32_e64 v17, v9, v8, s0
	v_sub_nc_u32_e32 v8, 0x3f1, v16
	v_lshrrev_b32_e32 v15, 16, v10
	v_add_nc_u32_e32 v16, 0xfffffc10, v16
	v_or_b32_e32 v19, 0x1000, v2
	v_and_b32_e32 v18, 7, v17
	v_med3_i32 v20, v8, 0, 13
	v_mul_f16_sdwa v22, v66, v15 dst_sel:DWORD dst_unused:UNUSED_PAD src0_sel:WORD_1 src1_sel:DWORD
	v_add_co_u32 v8, s0, v4, s8
	v_add_co_ci_u32_e64 v9, s0, s9, v5, s0
	v_lshrrev_b32_e32 v24, v20, v19
	v_cmp_lt_i32_e64 s0, 5, v18
	v_cmp_eq_u32_e64 s1, 3, v18
	v_fmac_f16_e32 v22, v66, v10
	v_lshrrev_b32_e32 v11, 2, v17
	v_lshlrev_b32_e32 v17, v20, v24
	v_mul_f64 v[0:1], v[0:1], s[4:5]
	s_or_b32 s0, s1, s0
	v_cvt_f32_f16_e32 v12, v22
	v_add_co_ci_u32_e64 v18, s0, 0, v11, s0
	v_cmp_ne_u32_e64 s0, v17, v19
	v_mul_f16_sdwa v10, v66, v10 dst_sel:DWORD dst_unused:UNUSED_PAD src0_sel:WORD_1 src1_sel:DWORD
	v_cvt_f64_f32_e32 v[11:12], v12
	v_lshl_or_b32 v19, v16, 12, v2
	v_cndmask_b32_e64 v17, 0, 1, s0
	v_cmp_ne_u32_e64 s0, 0, v6
	v_fma_f16 v10, v66, v15, -v10
	v_or_b32_e32 v17, v24, v17
	v_cndmask_b32_e64 v6, 0, 1, s0
	v_cmp_gt_i32_e64 s0, 31, v14
	v_cvt_f32_f16_e32 v10, v10
	v_lshl_or_b32 v6, v6, 9, 0x7c00
	v_cndmask_b32_e64 v15, 0x7c00, v18, s0
	v_cmp_gt_i32_e64 s0, 1, v16
	v_and_or_b32 v0, 0x1ff, v1, v0
	v_cndmask_b32_e64 v17, v19, v17, s0
	v_cmp_eq_u32_e64 s0, 0x40f, v14
	v_bfe_u32 v19, v1, 20, 11
	v_and_b32_e32 v18, 7, v17
	v_cndmask_b32_e64 v14, v15, v6, s0
	v_lshrrev_b32_e32 v15, 16, v7
	v_cvt_f64_f32_e32 v[6:7], v10
	v_mul_f64 v[10:11], v[11:12], s[4:5]
	v_cmp_ne_u32_e64 s0, 0, v0
	v_lshrrev_b32_e32 v12, 8, v1
	v_and_or_b32 v14, 0x8000, v15, v14
	v_and_b32_e32 v15, 0xffff, v23
	v_cmp_eq_u32_e64 s1, 3, v18
	v_cndmask_b32_e64 v0, 0, 1, s0
	v_cmp_lt_i32_e64 s0, 5, v18
	v_lshrrev_b32_e32 v1, 16, v1
	v_lshl_or_b32 v14, v14, 16, v15
	v_lshrrev_b32_e32 v15, 2, v17
	v_and_or_b32 v0, 0xffe, v12, v0
	v_sub_nc_u32_e32 v12, 0x3f1, v19
	s_or_b32 s0, s1, s0
	v_add_co_ci_u32_e64 v15, s0, 0, v15, s0
	v_or_b32_e32 v17, 0x1000, v0
	v_med3_i32 v12, v12, 0, 13
	v_cmp_ne_u32_e64 s0, 0, v2
	v_mul_f64 v[6:7], v[6:7], s[4:5]
	v_and_or_b32 v10, 0x1ff, v11, v10
	v_lshrrev_b32_e32 v18, v12, v17
	v_cndmask_b32_e64 v2, 0, 1, s0
	v_cmp_gt_i32_e64 s0, 31, v16
	v_lshrrev_b32_e32 v20, 8, v11
	v_bfe_u32 v22, v11, 20, 11
	v_lshlrev_b32_e32 v12, v12, v18
	v_lshl_or_b32 v2, v2, 9, 0x7c00
	v_cndmask_b32_e64 v15, 0x7c00, v15, s0
	v_cmp_ne_u32_e64 s0, 0, v10
	v_lshrrev_b32_e32 v11, 16, v11
	v_cndmask_b32_e64 v10, 0, 1, s0
	v_cmp_ne_u32_e64 s0, v12, v17
	v_add_nc_u32_e32 v17, 0xfffffc10, v19
	v_sub_nc_u32_e32 v19, 0x3f1, v22
	v_and_or_b32 v10, 0xffe, v20, v10
	v_cndmask_b32_e64 v12, 0, 1, s0
	v_cmp_eq_u32_e64 s0, 0x40f, v16
	v_and_or_b32 v6, 0x1ff, v7, v6
	v_bfe_u32 v20, v7, 20, 11
	v_or_b32_e32 v16, 0x1000, v10
	v_or_b32_e32 v12, v18, v12
	v_cndmask_b32_e64 v2, v15, v2, s0
	v_lshl_or_b32 v15, v17, 12, v0
	v_med3_i32 v18, v19, 0, 13
	v_cmp_gt_i32_e64 s0, 1, v17
	v_lshrrev_b32_e32 v19, 8, v7
	v_and_or_b32 v2, 0x8000, v3, v2
	v_lshrrev_b32_e32 v7, 16, v7
	v_cndmask_b32_e64 v12, v15, v12, s0
	v_lshrrev_b32_e32 v15, v18, v16
	v_cmp_ne_u32_e64 s0, 0, v6
	v_and_b32_e32 v23, 7, v12
	v_lshlrev_b32_e32 v18, v18, v15
	v_cndmask_b32_e64 v6, 0, 1, s0
	v_lshrrev_b32_e32 v12, 2, v12
	v_cmp_lt_i32_e64 s0, 5, v23
	v_cmp_ne_u32_e64 s1, v18, v16
	v_and_or_b32 v3, 0xffe, v19, v6
	v_sub_nc_u32_e32 v6, 0x3f1, v20
	v_add_nc_u32_e32 v19, 0xfffffc10, v22
	v_cndmask_b32_e64 v16, 0, 1, s1
	v_cmp_eq_u32_e64 s1, 3, v23
	v_or_b32_e32 v18, 0x1000, v3
	v_med3_i32 v6, v6, 0, 13
	v_lshl_or_b32 v22, v19, 12, v10
	v_or_b32_e32 v15, v15, v16
	s_or_b32 s0, s1, s0
	v_add_co_ci_u32_e64 v12, s0, 0, v12, s0
	v_lshrrev_b32_e32 v16, v6, v18
	v_cmp_gt_i32_e64 s0, 1, v19
	v_lshlrev_b32_e32 v6, v6, v16
	v_cndmask_b32_e64 v15, v22, v15, s0
	v_cmp_ne_u32_e64 s0, 0, v0
	v_cndmask_b32_e64 v0, 0, 1, s0
	v_cmp_ne_u32_e64 s0, v6, v18
	v_add_nc_u32_e32 v18, 0xfffffc10, v20
	v_and_b32_e32 v20, 7, v15
	v_lshl_or_b32 v0, v0, 9, 0x7c00
	v_cndmask_b32_e64 v6, 0, 1, s0
	v_cmp_gt_i32_e64 s0, 31, v17
	v_cmp_gt_i32_e64 s2, 1, v18
	v_cmp_eq_u32_e64 s1, 3, v20
	v_or_b32_e32 v6, v16, v6
	v_lshl_or_b32 v16, v18, 12, v3
	v_cndmask_b32_e64 v12, 0x7c00, v12, s0
	v_cmp_lt_i32_e64 s0, 5, v20
	v_cndmask_b32_e64 v6, v16, v6, s2
	v_cmp_eq_u32_e64 s2, 0x40f, v17
	s_or_b32 s0, s1, s0
	v_cndmask_b32_e64 v0, v12, v0, s2
	v_lshrrev_b32_e32 v12, 2, v15
	v_and_b32_e32 v15, 7, v6
	v_lshrrev_b32_e32 v6, 2, v6
	v_cmp_gt_i32_e64 s2, 31, v19
	v_and_or_b32 v0, 0x8000, v1, v0
	v_add_co_ci_u32_e64 v12, s0, 0, v12, s0
	v_cmp_ne_u32_e64 s0, 0, v10
	v_cmp_eq_u32_e64 s1, 3, v15
	v_and_b32_e32 v1, 0xffff, v2
	v_cndmask_b32_e64 v12, 0x7c00, v12, s2
	v_cndmask_b32_e64 v10, 0, 1, s0
	v_cmp_lt_i32_e64 s0, 5, v15
	v_lshl_or_b32 v10, v10, 9, 0x7c00
	s_or_b32 s0, s1, s0
	v_add_co_ci_u32_e64 v6, s0, 0, v6, s0
	v_cmp_ne_u32_e64 s0, 0, v3
	v_cndmask_b32_e64 v3, 0, 1, s0
	v_cmp_eq_u32_e64 s0, 0x40f, v19
	v_lshl_or_b32 v3, v3, 9, 0x7c00
	v_cndmask_b32_e64 v10, v12, v10, s0
	v_cmp_gt_i32_e64 s0, 31, v18
	v_and_or_b32 v10, 0x8000, v11, v10
	v_cndmask_b32_e64 v6, 0x7c00, v6, s0
	v_cmp_eq_u32_e64 s0, 0x40f, v18
	v_lshl_or_b32 v11, v0, 16, v1
	v_and_b32_e32 v1, 0xffff, v10
	v_cndmask_b32_e64 v6, v6, v3, s0
	v_add_co_u32 v2, s0, v8, s6
	v_add_co_ci_u32_e64 v3, s0, s7, v9, s0
	v_and_or_b32 v0, 0x8000, v7, v6
	v_add_co_u32 v6, s0, v2, s8
	v_add_co_ci_u32_e64 v7, s0, s9, v3, s0
	v_lshl_or_b32 v10, v0, 16, v1
	v_add_co_u32 v0, s0, v6, s6
	v_add_co_ci_u32_e64 v1, s0, s7, v7, s0
	global_store_dword v[4:5], v21, off
	global_store_dword v[8:9], v13, off
	;; [unrolled: 1-line block ×5, first 2 shown]
	s_and_b32 exec_lo, exec_lo, vcc_lo
	s_cbranch_execz .LBB0_31
; %bb.30:
	global_load_dword v2, v[30:31], off offset:1760
	ds_read_b32 v3, v65 offset:1760
	ds_read_b32 v6, v65 offset:3608
	s_waitcnt lgkmcnt(1)
	v_lshrrev_b32_e32 v4, 16, v3
	s_waitcnt vmcnt(0)
	v_mul_f16_sdwa v5, v4, v2 dst_sel:DWORD dst_unused:UNUSED_PAD src0_sel:DWORD src1_sel:WORD_1
	v_mul_f16_sdwa v7, v3, v2 dst_sel:DWORD dst_unused:UNUSED_PAD src0_sel:DWORD src1_sel:WORD_1
	v_fmac_f16_e32 v5, v3, v2
	v_fma_f16 v2, v2, v4, -v7
	v_cvt_f32_f16_e32 v3, v5
	v_cvt_f32_f16_e32 v4, v2
	v_cvt_f64_f32_e32 v[2:3], v3
	v_cvt_f64_f32_e32 v[4:5], v4
	v_mul_f64 v[2:3], v[2:3], s[4:5]
	v_mul_f64 v[4:5], v[4:5], s[4:5]
	v_and_or_b32 v2, 0x1ff, v3, v2
	v_and_or_b32 v4, 0x1ff, v5, v4
	v_lshrrev_b32_e32 v7, 8, v3
	v_bfe_u32 v8, v3, 20, 11
	v_lshrrev_b32_e32 v9, 8, v5
	v_cmp_ne_u32_e32 vcc_lo, 0, v2
	v_bfe_u32 v10, v5, 20, 11
	v_lshrrev_b32_e32 v3, 16, v3
	v_sub_nc_u32_e32 v11, 0x3f1, v8
	v_add_nc_u32_e32 v8, 0xfffffc10, v8
	v_cndmask_b32_e64 v2, 0, 1, vcc_lo
	v_cmp_ne_u32_e32 vcc_lo, 0, v4
	v_lshrrev_b32_e32 v5, 16, v5
	v_and_or_b32 v2, 0xffe, v7, v2
	v_cndmask_b32_e64 v4, 0, 1, vcc_lo
	v_sub_nc_u32_e32 v7, 0x3f1, v10
	v_add_nc_u32_e32 v10, 0xfffffc10, v10
	v_and_or_b32 v4, 0xffe, v9, v4
	v_med3_i32 v9, v11, 0, 13
	v_or_b32_e32 v11, 0x1000, v2
	v_med3_i32 v7, v7, 0, 13
	v_or_b32_e32 v12, 0x1000, v4
	v_lshrrev_b32_e32 v13, v9, v11
	v_lshrrev_b32_e32 v14, v7, v12
	v_lshlrev_b32_e32 v9, v9, v13
	v_lshlrev_b32_e32 v7, v7, v14
	v_cmp_ne_u32_e32 vcc_lo, v9, v11
	v_lshl_or_b32 v11, v8, 12, v2
	v_cndmask_b32_e64 v9, 0, 1, vcc_lo
	v_cmp_ne_u32_e32 vcc_lo, v7, v12
	v_lshl_or_b32 v12, v10, 12, v4
	v_or_b32_e32 v9, v13, v9
	v_cndmask_b32_e64 v7, 0, 1, vcc_lo
	v_cmp_gt_i32_e32 vcc_lo, 1, v8
	v_or_b32_e32 v7, v14, v7
	v_cndmask_b32_e32 v9, v11, v9, vcc_lo
	v_cmp_gt_i32_e32 vcc_lo, 1, v10
	v_and_b32_e32 v11, 7, v9
	v_cndmask_b32_e32 v7, v12, v7, vcc_lo
	v_cmp_ne_u32_e32 vcc_lo, 0, v2
	v_lshrrev_b32_e32 v9, 2, v9
	v_cmp_eq_u32_e64 s0, 3, v11
	v_and_b32_e32 v12, 7, v7
	v_cndmask_b32_e64 v2, 0, 1, vcc_lo
	v_cmp_ne_u32_e32 vcc_lo, 0, v4
	v_lshrrev_b32_e32 v7, 2, v7
	v_cmp_lt_i32_e64 s1, 5, v12
	v_cmp_eq_u32_e64 s2, 3, v12
	v_cndmask_b32_e64 v4, 0, 1, vcc_lo
	v_cmp_lt_i32_e32 vcc_lo, 5, v11
	v_lshl_or_b32 v2, v2, 9, 0x7c00
	v_lshl_or_b32 v4, v4, 9, 0x7c00
	s_or_b32 vcc_lo, s0, vcc_lo
	v_add_co_ci_u32_e32 v9, vcc_lo, 0, v9, vcc_lo
	s_or_b32 vcc_lo, s2, s1
	v_add_co_ci_u32_e32 v7, vcc_lo, 0, v7, vcc_lo
	v_cmp_gt_i32_e32 vcc_lo, 31, v8
	v_cndmask_b32_e32 v9, 0x7c00, v9, vcc_lo
	v_cmp_gt_i32_e32 vcc_lo, 31, v10
	v_cndmask_b32_e32 v7, 0x7c00, v7, vcc_lo
	v_cmp_eq_u32_e32 vcc_lo, 0x40f, v8
	v_cndmask_b32_e32 v2, v9, v2, vcc_lo
	v_cmp_eq_u32_e32 vcc_lo, 0x40f, v10
	v_and_or_b32 v2, 0x8000, v3, v2
	v_cndmask_b32_e32 v4, v7, v4, vcc_lo
	v_add_co_u32 v0, vcc_lo, v0, s8
	v_add_co_ci_u32_e32 v1, vcc_lo, s9, v1, vcc_lo
	v_and_or_b32 v3, 0x8000, v5, v4
	v_and_b32_e32 v2, 0xffff, v2
	v_lshl_or_b32 v2, v3, 16, v2
	s_waitcnt lgkmcnt(0)
	v_lshrrev_b32_e32 v3, 16, v6
	global_store_dword v[0:1], v2, off
	global_load_dword v2, v[28:29], off offset:1560
	s_waitcnt vmcnt(0)
	v_mul_f16_sdwa v4, v3, v2 dst_sel:DWORD dst_unused:UNUSED_PAD src0_sel:DWORD src1_sel:WORD_1
	v_mul_f16_sdwa v5, v6, v2 dst_sel:DWORD dst_unused:UNUSED_PAD src0_sel:DWORD src1_sel:WORD_1
	v_fmac_f16_e32 v4, v6, v2
	v_fma_f16 v2, v2, v3, -v5
	v_cvt_f32_f16_e32 v3, v4
	v_cvt_f32_f16_e32 v4, v2
	v_cvt_f64_f32_e32 v[2:3], v3
	v_cvt_f64_f32_e32 v[4:5], v4
	v_mul_f64 v[2:3], v[2:3], s[4:5]
	v_mul_f64 v[4:5], v[4:5], s[4:5]
	v_and_or_b32 v2, 0x1ff, v3, v2
	v_and_or_b32 v4, 0x1ff, v5, v4
	v_lshrrev_b32_e32 v6, 8, v3
	v_bfe_u32 v7, v3, 20, 11
	v_lshrrev_b32_e32 v8, 8, v5
	v_cmp_ne_u32_e32 vcc_lo, 0, v2
	v_bfe_u32 v9, v5, 20, 11
	v_lshrrev_b32_e32 v3, 16, v3
	v_sub_nc_u32_e32 v10, 0x3f1, v7
	v_add_nc_u32_e32 v7, 0xfffffc10, v7
	v_cndmask_b32_e64 v2, 0, 1, vcc_lo
	v_cmp_ne_u32_e32 vcc_lo, 0, v4
	v_lshrrev_b32_e32 v5, 16, v5
	v_and_or_b32 v2, 0xffe, v6, v2
	v_cndmask_b32_e64 v4, 0, 1, vcc_lo
	v_sub_nc_u32_e32 v6, 0x3f1, v9
	v_add_nc_u32_e32 v9, 0xfffffc10, v9
	v_and_or_b32 v4, 0xffe, v8, v4
	v_med3_i32 v8, v10, 0, 13
	v_or_b32_e32 v10, 0x1000, v2
	v_med3_i32 v6, v6, 0, 13
	v_or_b32_e32 v11, 0x1000, v4
	v_lshrrev_b32_e32 v12, v8, v10
	v_lshrrev_b32_e32 v13, v6, v11
	v_lshlrev_b32_e32 v8, v8, v12
	v_lshlrev_b32_e32 v6, v6, v13
	v_cmp_ne_u32_e32 vcc_lo, v8, v10
	v_lshl_or_b32 v10, v7, 12, v2
	v_cndmask_b32_e64 v8, 0, 1, vcc_lo
	v_cmp_ne_u32_e32 vcc_lo, v6, v11
	v_lshl_or_b32 v11, v9, 12, v4
	v_or_b32_e32 v8, v12, v8
	v_cndmask_b32_e64 v6, 0, 1, vcc_lo
	v_cmp_gt_i32_e32 vcc_lo, 1, v7
	v_or_b32_e32 v6, v13, v6
	v_cndmask_b32_e32 v8, v10, v8, vcc_lo
	v_cmp_gt_i32_e32 vcc_lo, 1, v9
	v_and_b32_e32 v10, 7, v8
	v_cndmask_b32_e32 v6, v11, v6, vcc_lo
	v_cmp_ne_u32_e32 vcc_lo, 0, v2
	v_lshrrev_b32_e32 v8, 2, v8
	v_cmp_eq_u32_e64 s0, 3, v10
	v_and_b32_e32 v11, 7, v6
	v_cndmask_b32_e64 v2, 0, 1, vcc_lo
	v_cmp_ne_u32_e32 vcc_lo, 0, v4
	v_lshrrev_b32_e32 v6, 2, v6
	v_cmp_lt_i32_e64 s1, 5, v11
	v_cmp_eq_u32_e64 s2, 3, v11
	v_cndmask_b32_e64 v4, 0, 1, vcc_lo
	v_cmp_lt_i32_e32 vcc_lo, 5, v10
	v_lshl_or_b32 v2, v2, 9, 0x7c00
	v_lshl_or_b32 v4, v4, 9, 0x7c00
	s_or_b32 vcc_lo, s0, vcc_lo
	v_add_co_ci_u32_e32 v8, vcc_lo, 0, v8, vcc_lo
	s_or_b32 vcc_lo, s2, s1
	v_add_co_ci_u32_e32 v6, vcc_lo, 0, v6, vcc_lo
	v_cmp_gt_i32_e32 vcc_lo, 31, v7
	v_cndmask_b32_e32 v8, 0x7c00, v8, vcc_lo
	v_cmp_gt_i32_e32 vcc_lo, 31, v9
	v_cndmask_b32_e32 v6, 0x7c00, v6, vcc_lo
	v_cmp_eq_u32_e32 vcc_lo, 0x40f, v7
	v_cndmask_b32_e32 v2, v8, v2, vcc_lo
	v_cmp_eq_u32_e32 vcc_lo, 0x40f, v9
	v_and_or_b32 v2, 0x8000, v3, v2
	v_cndmask_b32_e32 v4, v6, v4, vcc_lo
	v_add_co_u32 v0, vcc_lo, v0, s6
	v_add_co_ci_u32_e32 v1, vcc_lo, s7, v1, vcc_lo
	v_and_or_b32 v3, 0x8000, v5, v4
	v_and_b32_e32 v2, 0xffff, v2
	v_lshl_or_b32 v2, v3, 16, v2
	global_store_dword v[0:1], v2, off
.LBB0_31:
	s_endpgm
	.section	.rodata,"a",@progbits
	.p2align	6, 0x0
	.amdhsa_kernel bluestein_single_fwd_len924_dim1_half_op_CI_CI
		.amdhsa_group_segment_fixed_size 3696
		.amdhsa_private_segment_fixed_size 0
		.amdhsa_kernarg_size 104
		.amdhsa_user_sgpr_count 6
		.amdhsa_user_sgpr_private_segment_buffer 1
		.amdhsa_user_sgpr_dispatch_ptr 0
		.amdhsa_user_sgpr_queue_ptr 0
		.amdhsa_user_sgpr_kernarg_segment_ptr 1
		.amdhsa_user_sgpr_dispatch_id 0
		.amdhsa_user_sgpr_flat_scratch_init 0
		.amdhsa_user_sgpr_private_segment_size 0
		.amdhsa_wavefront_size32 1
		.amdhsa_uses_dynamic_stack 0
		.amdhsa_system_sgpr_private_segment_wavefront_offset 0
		.amdhsa_system_sgpr_workgroup_id_x 1
		.amdhsa_system_sgpr_workgroup_id_y 0
		.amdhsa_system_sgpr_workgroup_id_z 0
		.amdhsa_system_sgpr_workgroup_info 0
		.amdhsa_system_vgpr_workitem_id 0
		.amdhsa_next_free_vgpr 243
		.amdhsa_next_free_sgpr 16
		.amdhsa_reserve_vcc 1
		.amdhsa_reserve_flat_scratch 0
		.amdhsa_float_round_mode_32 0
		.amdhsa_float_round_mode_16_64 0
		.amdhsa_float_denorm_mode_32 3
		.amdhsa_float_denorm_mode_16_64 3
		.amdhsa_dx10_clamp 1
		.amdhsa_ieee_mode 1
		.amdhsa_fp16_overflow 0
		.amdhsa_workgroup_processor_mode 1
		.amdhsa_memory_ordered 1
		.amdhsa_forward_progress 0
		.amdhsa_shared_vgpr_count 0
		.amdhsa_exception_fp_ieee_invalid_op 0
		.amdhsa_exception_fp_denorm_src 0
		.amdhsa_exception_fp_ieee_div_zero 0
		.amdhsa_exception_fp_ieee_overflow 0
		.amdhsa_exception_fp_ieee_underflow 0
		.amdhsa_exception_fp_ieee_inexact 0
		.amdhsa_exception_int_div_zero 0
	.end_amdhsa_kernel
	.text
.Lfunc_end0:
	.size	bluestein_single_fwd_len924_dim1_half_op_CI_CI, .Lfunc_end0-bluestein_single_fwd_len924_dim1_half_op_CI_CI
                                        ; -- End function
	.section	.AMDGPU.csdata,"",@progbits
; Kernel info:
; codeLenInByte = 39256
; NumSgprs: 18
; NumVgprs: 243
; ScratchSize: 0
; MemoryBound: 0
; FloatMode: 240
; IeeeMode: 1
; LDSByteSize: 3696 bytes/workgroup (compile time only)
; SGPRBlocks: 2
; VGPRBlocks: 30
; NumSGPRsForWavesPerEU: 18
; NumVGPRsForWavesPerEU: 243
; Occupancy: 4
; WaveLimiterHint : 1
; COMPUTE_PGM_RSRC2:SCRATCH_EN: 0
; COMPUTE_PGM_RSRC2:USER_SGPR: 6
; COMPUTE_PGM_RSRC2:TRAP_HANDLER: 0
; COMPUTE_PGM_RSRC2:TGID_X_EN: 1
; COMPUTE_PGM_RSRC2:TGID_Y_EN: 0
; COMPUTE_PGM_RSRC2:TGID_Z_EN: 0
; COMPUTE_PGM_RSRC2:TIDIG_COMP_CNT: 0
	.text
	.p2alignl 6, 3214868480
	.fill 48, 4, 3214868480
	.type	__hip_cuid_3e0fabd11fc4205a,@object ; @__hip_cuid_3e0fabd11fc4205a
	.section	.bss,"aw",@nobits
	.globl	__hip_cuid_3e0fabd11fc4205a
__hip_cuid_3e0fabd11fc4205a:
	.byte	0                               ; 0x0
	.size	__hip_cuid_3e0fabd11fc4205a, 1

	.ident	"AMD clang version 19.0.0git (https://github.com/RadeonOpenCompute/llvm-project roc-6.4.0 25133 c7fe45cf4b819c5991fe208aaa96edf142730f1d)"
	.section	".note.GNU-stack","",@progbits
	.addrsig
	.addrsig_sym __hip_cuid_3e0fabd11fc4205a
	.amdgpu_metadata
---
amdhsa.kernels:
  - .args:
      - .actual_access:  read_only
        .address_space:  global
        .offset:         0
        .size:           8
        .value_kind:     global_buffer
      - .actual_access:  read_only
        .address_space:  global
        .offset:         8
        .size:           8
        .value_kind:     global_buffer
      - .actual_access:  read_only
        .address_space:  global
        .offset:         16
        .size:           8
        .value_kind:     global_buffer
      - .actual_access:  read_only
        .address_space:  global
        .offset:         24
        .size:           8
        .value_kind:     global_buffer
      - .actual_access:  read_only
        .address_space:  global
        .offset:         32
        .size:           8
        .value_kind:     global_buffer
      - .offset:         40
        .size:           8
        .value_kind:     by_value
      - .address_space:  global
        .offset:         48
        .size:           8
        .value_kind:     global_buffer
      - .address_space:  global
        .offset:         56
        .size:           8
        .value_kind:     global_buffer
      - .address_space:  global
        .offset:         64
        .size:           8
        .value_kind:     global_buffer
      - .address_space:  global
        .offset:         72
        .size:           8
        .value_kind:     global_buffer
      - .offset:         80
        .size:           4
        .value_kind:     by_value
      - .address_space:  global
        .offset:         88
        .size:           8
        .value_kind:     global_buffer
      - .address_space:  global
        .offset:         96
        .size:           8
        .value_kind:     global_buffer
    .group_segment_fixed_size: 3696
    .kernarg_segment_align: 8
    .kernarg_segment_size: 104
    .language:       OpenCL C
    .language_version:
      - 2
      - 0
    .max_flat_workgroup_size: 44
    .name:           bluestein_single_fwd_len924_dim1_half_op_CI_CI
    .private_segment_fixed_size: 0
    .sgpr_count:     18
    .sgpr_spill_count: 0
    .symbol:         bluestein_single_fwd_len924_dim1_half_op_CI_CI.kd
    .uniform_work_group_size: 1
    .uses_dynamic_stack: false
    .vgpr_count:     243
    .vgpr_spill_count: 0
    .wavefront_size: 32
    .workgroup_processor_mode: 1
amdhsa.target:   amdgcn-amd-amdhsa--gfx1030
amdhsa.version:
  - 1
  - 2
...

	.end_amdgpu_metadata
